;; amdgpu-corpus repo=ROCm/rocFFT kind=compiled arch=gfx1201 opt=O3
	.text
	.amdgcn_target "amdgcn-amd-amdhsa--gfx1201"
	.amdhsa_code_object_version 6
	.protected	bluestein_single_back_len1936_dim1_dp_op_CI_CI ; -- Begin function bluestein_single_back_len1936_dim1_dp_op_CI_CI
	.globl	bluestein_single_back_len1936_dim1_dp_op_CI_CI
	.p2align	8
	.type	bluestein_single_back_len1936_dim1_dp_op_CI_CI,@function
bluestein_single_back_len1936_dim1_dp_op_CI_CI: ; @bluestein_single_back_len1936_dim1_dp_op_CI_CI
; %bb.0:
	s_load_b128 s[8:11], s[0:1], 0x28
	v_mul_u32_u24_e32 v1, 0x175, v0
	s_mov_b32 s2, exec_lo
	v_mov_b32_e32 v3, 0
	s_delay_alu instid0(VALU_DEP_2) | instskip(NEXT) | instid1(VALU_DEP_1)
	v_lshrrev_b32_e32 v1, 16, v1
	v_add_nc_u32_e32 v2, ttmp9, v1
	s_wait_kmcnt 0x0
	s_delay_alu instid0(VALU_DEP_1)
	v_cmpx_gt_u64_e64 s[8:9], v[2:3]
	s_cbranch_execz .LBB0_31
; %bb.1:
	s_clause 0x1
	s_load_b128 s[4:7], s[0:1], 0x18
	s_load_b64 s[16:17], s[0:1], 0x0
	v_mul_lo_u16 v1, 0xb0, v1
	s_movk_i32 s2, 0xfce8
	s_mov_b32 s3, -1
	v_mov_b32_e32 v3, v2
	s_delay_alu instid0(VALU_DEP_2) | instskip(NEXT) | instid1(VALU_DEP_1)
	v_sub_nc_u16 v4, v0, v1
	v_and_b32_e32 v188, 0xffff, v4
	scratch_store_b64 off, v[3:4], off offset:16 ; 8-byte Folded Spill
	s_wait_kmcnt 0x0
	s_load_b128 s[12:15], s[4:5], 0x0
	s_wait_kmcnt 0x0
	v_mad_co_u64_u32 v[12:13], null, s14, v2, 0
	v_mad_co_u64_u32 v[20:21], null, s12, v188, 0
	s_mul_u64 s[4:5], s[12:13], 0x3c8
	s_mul_u64 s[2:3], s[12:13], s[2:3]
	s_delay_alu instid0(SALU_CYCLE_1) | instskip(NEXT) | instid1(VALU_DEP_1)
	s_lshl_b64 s[2:3], s[2:3], 4
	v_dual_mov_b32 v0, v13 :: v_dual_mov_b32 v1, v21
	v_lshlrev_b32_e32 v187, 4, v188
	s_delay_alu instid0(VALU_DEP_2) | instskip(NEXT) | instid1(VALU_DEP_1)
	v_mad_co_u64_u32 v[2:3], null, s15, v2, v[0:1]
	v_mad_co_u64_u32 v[14:15], null, s13, v188, v[1:2]
	v_mov_b32_e32 v13, v2
	s_clause 0x2
	global_load_b128 v[5:8], v187, s[16:17] offset:15488
	global_load_b128 v[15:18], v187, s[16:17]
	global_load_b128 v[24:27], v187, s[16:17] offset:2816
	v_lshlrev_b64_e32 v[22:23], 4, v[12:13]
	v_mov_b32_e32 v21, v14
	s_clause 0x1
	global_load_b128 v[9:12], v187, s[16:17] offset:18304
	global_load_b128 v[28:31], v187, s[16:17] offset:21120
	v_add_co_u32 v0, vcc_lo, s10, v22
	v_lshlrev_b64_e32 v[20:21], 4, v[20:21]
	v_add_co_ci_u32_e32 v1, vcc_lo, s11, v23, vcc_lo
	s_lshl_b64 s[10:11], s[4:5], 4
	s_delay_alu instid0(VALU_DEP_2) | instskip(SKIP_1) | instid1(VALU_DEP_2)
	v_add_co_u32 v32, vcc_lo, v0, v20
	s_wait_alu 0xfffd
	v_add_co_ci_u32_e32 v33, vcc_lo, v1, v21, vcc_lo
	s_clause 0x1
	global_load_b128 v[0:3], v187, s[16:17] offset:5632
	global_load_b128 v[19:22], v187, s[16:17] offset:8448
	s_wait_alu 0xfffe
	v_add_co_u32 v34, vcc_lo, v32, s10
	s_wait_alu 0xfffd
	v_add_co_ci_u32_e32 v35, vcc_lo, s11, v33, vcc_lo
	global_load_b128 v[122:125], v187, s[16:17] offset:23936
	v_add_co_u32 v36, vcc_lo, v34, s2
	s_wait_alu 0xfffd
	v_add_co_ci_u32_e32 v37, vcc_lo, s3, v35, vcc_lo
	s_clause 0x1
	global_load_b128 v[42:45], v[32:33], off
	global_load_b128 v[46:49], v[34:35], off
	v_add_co_u32 v38, vcc_lo, v36, s10
	s_wait_alu 0xfffd
	v_add_co_ci_u32_e32 v39, vcc_lo, s11, v37, vcc_lo
	s_clause 0x1
	global_load_b128 v[50:53], v[36:37], off
	global_load_b128 v[54:57], v[38:39], off
	v_add_co_u32 v40, vcc_lo, v38, s2
	s_wait_alu 0xfffd
	v_add_co_ci_u32_e32 v41, vcc_lo, s3, v39, vcc_lo
	s_delay_alu instid0(VALU_DEP_2) | instskip(SKIP_1) | instid1(VALU_DEP_2)
	v_add_co_u32 v32, vcc_lo, v40, s10
	s_wait_alu 0xfffd
	v_add_co_ci_u32_e32 v33, vcc_lo, s11, v41, vcc_lo
	global_load_b128 v[58:61], v[40:41], off
	v_add_co_u32 v34, vcc_lo, v32, s2
	s_wait_alu 0xfffd
	v_add_co_ci_u32_e32 v35, vcc_lo, s3, v33, vcc_lo
	global_load_b128 v[62:65], v[32:33], off
	;; [unrolled: 4-line block ×3, first 2 shown]
	v_add_co_u32 v38, vcc_lo, v36, s2
	s_wait_alu 0xfffd
	v_add_co_ci_u32_e32 v39, vcc_lo, s3, v37, vcc_lo
	s_delay_alu instid0(VALU_DEP_2) | instskip(SKIP_1) | instid1(VALU_DEP_2)
	v_add_co_u32 v40, vcc_lo, v38, s10
	s_wait_alu 0xfffd
	v_add_co_ci_u32_e32 v41, vcc_lo, s11, v39, vcc_lo
	global_load_b128 v[70:73], v[36:37], off
	global_load_b128 v[32:35], v187, s[16:17] offset:11264
	global_load_b128 v[74:77], v[38:39], off
	global_load_b128 v[36:39], v187, s[16:17] offset:26752
	global_load_b128 v[78:81], v[40:41], off
	v_cmp_gt_u16_e32 vcc_lo, 0x58, v4
	s_wait_loadcnt 0x13
	scratch_store_b128 off, v[5:8], off offset:24 ; 16-byte Folded Spill
	s_wait_loadcnt 0x12
	scratch_store_b128 off, v[15:18], off offset:40 ; 16-byte Folded Spill
	;; [unrolled: 2-line block ×8, first 2 shown]
	s_wait_loadcnt 0xb
	v_mul_f64_e32 v[82:83], v[44:45], v[17:18]
	v_mul_f64_e32 v[84:85], v[42:43], v[17:18]
	s_wait_loadcnt 0xa
	v_mul_f64_e32 v[86:87], v[48:49], v[7:8]
	v_mul_f64_e32 v[88:89], v[46:47], v[7:8]
	;; [unrolled: 3-line block ×10, first 2 shown]
	v_fma_f64 v[42:43], v[42:43], v[15:16], v[82:83]
	v_fma_f64 v[44:45], v[44:45], v[15:16], -v[84:85]
	v_fma_f64 v[46:47], v[46:47], v[5:6], v[86:87]
	v_fma_f64 v[48:49], v[48:49], v[5:6], -v[88:89]
	s_clause 0x1
	scratch_store_b128 off, v[32:35], off offset:160
	scratch_store_b128 off, v[36:39], off offset:176
	v_fma_f64 v[50:51], v[50:51], v[24:25], v[90:91]
	v_fma_f64 v[52:53], v[52:53], v[24:25], -v[92:93]
	v_fma_f64 v[54:55], v[54:55], v[9:10], v[94:95]
	v_fma_f64 v[56:57], v[56:57], v[9:10], -v[96:97]
	s_load_b64 s[8:9], s[0:1], 0x38
	s_load_b128 s[4:7], s[6:7], 0x0
	v_add_co_u32 v5, s12, s16, v187
	s_wait_alu 0xf1ff
	v_add_co_ci_u32_e64 v6, null, s17, 0, s12
	v_fma_f64 v[58:59], v[58:59], v[0:1], v[98:99]
	v_fma_f64 v[60:61], v[60:61], v[0:1], -v[100:101]
	v_fma_f64 v[62:63], v[62:63], v[28:29], v[102:103]
	v_fma_f64 v[64:65], v[64:65], v[28:29], -v[104:105]
	;; [unrolled: 2-line block ×3, first 2 shown]
	ds_store_b128 v187, v[42:45]
	ds_store_b128 v187, v[50:53] offset:2816
	ds_store_b128 v187, v[54:57] offset:18304
	;; [unrolled: 1-line block ×5, first 2 shown]
	v_fma_f64 v[74:75], v[74:75], v[32:33], v[114:115]
	v_fma_f64 v[76:77], v[76:77], v[32:33], -v[116:117]
	v_fma_f64 v[70:71], v[70:71], v[122:123], v[110:111]
	v_fma_f64 v[72:73], v[72:73], v[122:123], -v[112:113]
	;; [unrolled: 2-line block ×3, first 2 shown]
	ds_store_b128 v187, v[46:49] offset:15488
	ds_store_b128 v187, v[74:77] offset:11264
	;; [unrolled: 1-line block ×4, first 2 shown]
	s_and_saveexec_b32 s12, vcc_lo
	s_cbranch_execz .LBB0_3
; %bb.2:
	v_add_co_u32 v40, s2, v40, s2
	s_wait_alu 0xf1ff
	v_add_co_ci_u32_e64 v41, s2, s3, v41, s2
	s_delay_alu instid0(VALU_DEP_2) | instskip(SKIP_1) | instid1(VALU_DEP_2)
	v_add_co_u32 v52, s2, v40, s10
	s_wait_alu 0xf1ff
	v_add_co_ci_u32_e64 v53, s2, s11, v41, s2
	global_load_b128 v[40:43], v[40:41], off
	s_clause 0x1
	global_load_b128 v[44:47], v[5:6], off offset:14080
	global_load_b128 v[48:51], v[5:6], off offset:29568
	global_load_b128 v[52:55], v[52:53], off
	s_wait_loadcnt 0x2
	v_mul_f64_e32 v[56:57], v[42:43], v[46:47]
	v_mul_f64_e32 v[46:47], v[40:41], v[46:47]
	s_wait_loadcnt 0x0
	v_mul_f64_e32 v[58:59], v[54:55], v[50:51]
	v_mul_f64_e32 v[50:51], v[52:53], v[50:51]
	s_delay_alu instid0(VALU_DEP_4) | instskip(NEXT) | instid1(VALU_DEP_4)
	v_fma_f64 v[40:41], v[40:41], v[44:45], v[56:57]
	v_fma_f64 v[42:43], v[42:43], v[44:45], -v[46:47]
	s_delay_alu instid0(VALU_DEP_4) | instskip(NEXT) | instid1(VALU_DEP_4)
	v_fma_f64 v[44:45], v[52:53], v[48:49], v[58:59]
	v_fma_f64 v[46:47], v[54:55], v[48:49], -v[50:51]
	ds_store_b128 v187, v[40:43] offset:14080
	ds_store_b128 v187, v[44:47] offset:29568
.LBB0_3:
	s_wait_alu 0xfffe
	s_or_b32 exec_lo, exec_lo, s12
	global_wb scope:SCOPE_SE
	s_wait_storecnt_dscnt 0x0
	s_wait_kmcnt 0x0
	s_barrier_signal -1
	s_barrier_wait -1
	global_inv scope:SCOPE_SE
	ds_load_b128 v[40:43], v187
	ds_load_b128 v[48:51], v187 offset:2816
	ds_load_b128 v[80:83], v187 offset:18304
	;; [unrolled: 1-line block ×9, first 2 shown]
                                        ; implicit-def: $vgpr68_vgpr69
                                        ; implicit-def: $vgpr64_vgpr65
	s_and_saveexec_b32 s2, vcc_lo
	s_cbranch_execz .LBB0_5
; %bb.4:
	ds_load_b128 v[64:67], v187 offset:14080
	ds_load_b128 v[68:71], v187 offset:29568
.LBB0_5:
	s_wait_alu 0xfffe
	s_or_b32 exec_lo, exec_lo, s2
	s_wait_dscnt 0x3
	v_add_f64_e64 v[84:85], v[40:41], -v[84:85]
	v_add_f64_e64 v[86:87], v[42:43], -v[86:87]
	s_wait_dscnt 0x0
	v_add_f64_e64 v[88:89], v[60:61], -v[44:45]
	v_add_f64_e64 v[90:91], v[62:63], -v[46:47]
	;; [unrolled: 1-line block ×10, first 2 shown]
	s_load_b64 s[2:3], s[0:1], 0x8
	v_lshlrev_b32_e32 v92, 1, v188
	v_add_co_u32 v93, null, 0x370, v188
	v_add_co_u32 v109, null, 0xb0, v188
	;; [unrolled: 1-line block ×3, first 2 shown]
	s_delay_alu instid0(VALU_DEP_4)
	v_add_nc_u32_e32 v96, 0x420, v92
	v_add_nc_u32_e32 v97, 0x580, v92
	v_lshlrev_b32_e32 v1, 5, v93
	global_wb scope:SCOPE_SE
	s_wait_kmcnt 0x0
	s_barrier_signal -1
	s_barrier_wait -1
	global_inv scope:SCOPE_SE
	v_lshlrev_b32_e32 v2, 5, v188
	v_lshlrev_b32_e32 v94, 1, v109
	;; [unrolled: 1-line block ×5, first 2 shown]
	scratch_store_b32 off, v1, off offset:344 ; 4-byte Folded Spill
	v_lshlrev_b32_e32 v7, 4, v96
	v_lshlrev_b32_e32 v1, 4, v97
	;; [unrolled: 1-line block ×3, first 2 shown]
	v_fma_f64 v[68:69], v[40:41], 2.0, -v[84:85]
	v_fma_f64 v[70:71], v[42:43], 2.0, -v[86:87]
	;; [unrolled: 1-line block ×12, first 2 shown]
	ds_store_b128 v2, v[68:71]
	ds_store_b128 v2, v[84:87] offset:16
	ds_store_b128 v3, v[48:51]
	scratch_store_b32 off, v3, off offset:192 ; 4-byte Folded Spill
	ds_store_b128 v3, v[80:83] offset:16
	ds_store_b128 v4, v[56:59]
	scratch_store_b32 off, v4, off offset:200 ; 4-byte Folded Spill
	ds_store_b128 v4, v[76:79] offset:16
	ds_store_b128 v0, v[52:55] offset:16896
	scratch_store_b32 off, v7, off offset:204 ; 4-byte Folded Spill
	ds_store_b128 v7, v[72:75] offset:16
	ds_store_b128 v0, v[60:63] offset:22528
	scratch_store_b32 off, v1, off offset:196 ; 4-byte Folded Spill
	ds_store_b128 v1, v[88:91] offset:16
	s_and_saveexec_b32 s0, vcc_lo
	s_cbranch_execz .LBB0_7
; %bb.6:
	v_lshlrev_b32_e32 v0, 5, v93
	ds_store_b128 v0, v[40:43]
	ds_store_b128 v0, v[44:47] offset:16
.LBB0_7:
	s_wait_alu 0xfffe
	s_or_b32 exec_lo, exec_lo, s0
	global_wb scope:SCOPE_SE
	s_wait_storecnt_dscnt 0x0
	s_barrier_signal -1
	s_barrier_wait -1
	global_inv scope:SCOPE_SE
	ds_load_b128 v[48:51], v187
	ds_load_b128 v[56:59], v187 offset:2816
	ds_load_b128 v[60:63], v187 offset:18304
	;; [unrolled: 1-line block ×9, first 2 shown]
	s_and_saveexec_b32 s0, vcc_lo
	s_cbranch_execz .LBB0_9
; %bb.8:
	ds_load_b128 v[40:43], v187 offset:14080
	ds_load_b128 v[44:47], v187 offset:29568
.LBB0_9:
	s_wait_alu 0xfffe
	s_or_b32 exec_lo, exec_lo, s0
	v_and_b32_e32 v4, 1, v188
	s_delay_alu instid0(VALU_DEP_1)
	v_lshlrev_b32_e32 v0, 4, v4
	v_and_or_b32 v1, 0x3fc, v94, v4
	v_and_or_b32 v2, 0x7fc, v95, v4
	;; [unrolled: 1-line block ×3, first 2 shown]
	global_load_b128 v[52:55], v0, s[2:3]
	v_lshlrev_b32_e32 v0, 1, v93
	v_lshlrev_b32_e32 v7, 4, v1
	;; [unrolled: 1-line block ×4, first 2 shown]
	scratch_store_b32 off, v0, off offset:208 ; 4-byte Folded Spill
	v_and_or_b32 v0, 0x1fc, v92, v4
	v_and_or_b32 v4, 0x7fc, v97, v4
	global_wb scope:SCOPE_SE
	s_wait_storecnt 0x0
	s_wait_loadcnt_dscnt 0x0
	s_barrier_signal -1
	s_barrier_wait -1
	v_lshlrev_b32_e32 v8, 4, v0
	v_lshlrev_b32_e32 v0, 4, v4
	global_inv scope:SCOPE_SE
	scratch_store_b32 off, v8, off offset:264 ; 4-byte Folded Spill
	v_mul_f64_e32 v[98:99], v[90:91], v[54:55]
	v_mul_f64_e32 v[100:101], v[88:89], v[54:55]
	;; [unrolled: 1-line block ×12, first 2 shown]
	v_fma_f64 v[88:89], v[88:89], v[52:53], -v[98:99]
	v_fma_f64 v[90:91], v[90:91], v[52:53], v[100:101]
	v_fma_f64 v[60:61], v[60:61], v[52:53], -v[102:103]
	v_fma_f64 v[62:63], v[62:63], v[52:53], v[104:105]
	;; [unrolled: 2-line block ×6, first 2 shown]
	v_add_f64_e64 v[44:45], v[48:49], -v[88:89]
	v_add_f64_e64 v[46:47], v[50:51], -v[90:91]
	v_add_f64_e64 v[80:81], v[56:57], -v[60:61]
	v_add_f64_e64 v[82:83], v[58:59], -v[62:63]
	v_add_f64_e64 v[84:85], v[72:73], -v[64:65]
	v_add_f64_e64 v[86:87], v[74:75], -v[66:67]
	v_add_f64_e64 v[88:89], v[68:69], -v[98:99]
	v_add_f64_e64 v[90:91], v[70:71], -v[100:101]
	v_add_f64_e64 v[60:61], v[76:77], -v[102:103]
	v_add_f64_e64 v[62:63], v[78:79], -v[104:105]
	v_add_f64_e64 v[64:65], v[40:41], -v[106:107]
	v_add_f64_e64 v[66:67], v[42:43], -v[110:111]
	v_fma_f64 v[48:49], v[48:49], 2.0, -v[44:45]
	v_fma_f64 v[50:51], v[50:51], 2.0, -v[46:47]
	;; [unrolled: 1-line block ×12, first 2 shown]
	ds_store_b128 v8, v[48:51]
	ds_store_b128 v8, v[44:47] offset:32
	ds_store_b128 v7, v[98:101]
	scratch_store_b32 off, v7, off offset:260 ; 4-byte Folded Spill
	ds_store_b128 v7, v[80:83] offset:32
	ds_store_b128 v2, v[72:75]
	scratch_store_b32 off, v2, off offset:256 ; 4-byte Folded Spill
	;; [unrolled: 3-line block ×4, first 2 shown]
	ds_store_b128 v0, v[60:63] offset:32
	s_and_saveexec_b32 s0, vcc_lo
	s_cbranch_execz .LBB0_11
; %bb.10:
	scratch_load_b32 v1, off, off offset:208 ; 4-byte Folded Reload
	v_and_b32_e32 v0, 1, v188
	s_wait_loadcnt 0x0
	s_delay_alu instid0(VALU_DEP_1) | instskip(NEXT) | instid1(VALU_DEP_1)
	v_and_or_b32 v0, 0x7fc, v1, v0
	v_lshlrev_b32_e32 v0, 4, v0
	ds_store_b128 v0, v[68:71]
	ds_store_b128 v0, v[64:67] offset:32
.LBB0_11:
	s_wait_alu 0xfffe
	s_or_b32 exec_lo, exec_lo, s0
	global_wb scope:SCOPE_SE
	s_wait_storecnt_dscnt 0x0
	s_barrier_signal -1
	s_barrier_wait -1
	global_inv scope:SCOPE_SE
	ds_load_b128 v[72:75], v187
	ds_load_b128 v[76:79], v187 offset:2816
	ds_load_b128 v[92:95], v187 offset:7744
	;; [unrolled: 1-line block ×7, first 2 shown]
	v_cmp_gt_u16_e64 s0, 0x84, v188
	s_delay_alu instid0(VALU_DEP_1)
	s_and_saveexec_b32 s1, s0
	s_cbranch_execz .LBB0_13
; %bb.12:
	ds_load_b128 v[56:59], v187 offset:5632
	ds_load_b128 v[60:63], v187 offset:13376
	;; [unrolled: 1-line block ×4, first 2 shown]
.LBB0_13:
	s_wait_alu 0xfffe
	s_or_b32 exec_lo, exec_lo, s1
	v_and_b32_e32 v2, 3, v188
	scratch_store_b64 off, v[5:6], off offset:152 ; 8-byte Folded Spill
	v_lshlrev_b32_e32 v0, 2, v188
	v_lshlrev_b32_e32 v1, 2, v109
	v_mad_co_u64_u32 v[40:41], null, v2, 48, s[2:3]
	s_delay_alu instid0(VALU_DEP_3) | instskip(NEXT) | instid1(VALU_DEP_3)
	v_and_or_b32 v0, 0x3f0, v0, v2
	v_and_or_b32 v1, 0x7f0, v1, v2
	v_lshlrev_b32_e32 v2, 2, v108
	s_clause 0x2
	global_load_b128 v[48:51], v[40:41], off offset:32
	global_load_b128 v[44:47], v[40:41], off offset:48
	;; [unrolled: 1-line block ×3, first 2 shown]
	v_lshlrev_b32_e32 v0, 4, v0
	v_lshlrev_b32_e32 v195, 4, v1
	scratch_store_b32 off, v2, off offset:252 ; 4-byte Folded Spill
	s_wait_loadcnt_dscnt 0x204
	v_mul_f64_e32 v[120:121], v[80:81], v[50:51]
	s_wait_loadcnt_dscnt 0x102
	v_mul_f64_e32 v[122:123], v[86:87], v[46:47]
	v_mul_f64_e32 v[124:125], v[84:85], v[46:47]
	s_wait_loadcnt_dscnt 0x0
	v_mul_f64_e32 v[128:129], v[88:89], v[42:43]
	v_mul_f64_e32 v[118:119], v[82:83], v[50:51]
	;; [unrolled: 1-line block ×9, first 2 shown]
	v_fma_f64 v[82:83], v[82:83], v[48:49], v[120:121]
	v_fma_f64 v[84:85], v[84:85], v[44:45], -v[122:123]
	v_fma_f64 v[86:87], v[86:87], v[44:45], v[124:125]
	v_fma_f64 v[90:91], v[90:91], v[40:41], v[128:129]
	v_fma_f64 v[80:81], v[80:81], v[48:49], -v[118:119]
	v_fma_f64 v[88:89], v[88:89], v[40:41], -v[126:127]
	v_fma_f64 v[92:93], v[92:93], v[48:49], -v[104:105]
	v_fma_f64 v[94:95], v[94:95], v[48:49], v[106:107]
	v_fma_f64 v[96:97], v[96:97], v[44:45], -v[110:111]
	v_fma_f64 v[98:99], v[98:99], v[44:45], v[112:113]
	v_fma_f64 v[100:101], v[100:101], v[40:41], -v[114:115]
	v_fma_f64 v[102:103], v[102:103], v[40:41], v[116:117]
	v_mul_f64_e32 v[104:105], v[62:63], v[50:51]
	v_mul_f64_e32 v[106:107], v[70:71], v[46:47]
	;; [unrolled: 1-line block ×4, first 2 shown]
	v_add_f64_e64 v[110:111], v[76:77], -v[84:85]
	v_add_f64_e64 v[112:113], v[78:79], -v[86:87]
	;; [unrolled: 1-line block ×3, first 2 shown]
	v_mul_f64_e32 v[86:87], v[60:61], v[50:51]
	v_mul_f64_e32 v[90:91], v[68:69], v[46:47]
	v_add_f64_e64 v[88:89], v[80:81], -v[88:89]
	v_add_f64_e64 v[96:97], v[72:73], -v[96:97]
	;; [unrolled: 1-line block ×5, first 2 shown]
	v_fma_f64 v[60:61], v[60:61], v[48:49], -v[104:105]
	v_fma_f64 v[68:69], v[68:69], v[44:45], -v[106:107]
	v_fma_f64 v[118:119], v[76:77], 2.0, -v[110:111]
	v_fma_f64 v[120:121], v[78:79], 2.0, -v[112:113]
	;; [unrolled: 1-line block ×3, first 2 shown]
	v_fma_f64 v[62:63], v[62:63], v[48:49], v[86:87]
	v_fma_f64 v[70:71], v[70:71], v[44:45], v[90:91]
	;; [unrolled: 1-line block ×3, first 2 shown]
	v_fma_f64 v[114:115], v[64:65], v[40:41], -v[116:117]
	v_fma_f64 v[78:79], v[80:81], 2.0, -v[88:89]
	v_fma_f64 v[104:105], v[72:73], 2.0, -v[96:97]
	;; [unrolled: 1-line block ×5, first 2 shown]
	v_add_f64_e64 v[64:65], v[56:57], -v[68:69]
	v_add_f64_e64 v[72:73], v[96:97], -v[102:103]
	v_add_f64_e32 v[74:75], v[98:99], v[100:101]
	v_add_f64_e64 v[76:77], v[110:111], -v[84:85]
	v_add_f64_e64 v[86:87], v[120:121], -v[122:123]
	;; [unrolled: 1-line block ×6, first 2 shown]
	v_add_f64_e32 v[78:79], v[112:113], v[88:89]
	v_add_f64_e64 v[80:81], v[104:105], -v[92:93]
	v_add_f64_e64 v[82:83], v[106:107], -v[94:95]
	v_fma_f64 v[88:89], v[96:97], 2.0, -v[72:73]
	v_fma_f64 v[90:91], v[98:99], 2.0, -v[74:75]
	;; [unrolled: 1-line block ×4, first 2 shown]
	v_add_f64_e64 v[3:4], v[64:65], -v[70:71]
	v_add_f64_e32 v[5:6], v[66:67], v[68:69]
	v_fma_f64 v[100:101], v[118:119], 2.0, -v[84:85]
	v_fma_f64 v[94:95], v[112:113], 2.0, -v[78:79]
	;; [unrolled: 1-line block ×4, first 2 shown]
	scratch_store_b128 off, v[3:6], off     ; 16-byte Folded Spill
	global_wb scope:SCOPE_SE
	s_wait_storecnt 0x0
	s_barrier_signal -1
	s_barrier_wait -1
	global_inv scope:SCOPE_SE
	ds_store_b128 v0, v[80:83] offset:128
	ds_store_b128 v0, v[72:75] offset:192
	ds_store_b128 v0, v[96:99]
	scratch_store_b32 off, v0, off offset:300 ; 4-byte Folded Spill
	ds_store_b128 v0, v[88:91] offset:64
	ds_store_b128 v195, v[100:103]
	ds_store_b128 v195, v[92:95] offset:64
	ds_store_b128 v195, v[84:87] offset:128
	;; [unrolled: 1-line block ×3, first 2 shown]
	s_and_saveexec_b32 s1, s0
	s_cbranch_execz .LBB0_15
; %bb.14:
	s_clause 0x1
	scratch_load_b128 v[2:5], off, off
	scratch_load_b32 v1, off, off offset:252
	v_fma_f64 v[72:73], v[58:59], 2.0, -v[66:67]
	v_fma_f64 v[58:59], v[62:63], 2.0, -v[70:71]
	;; [unrolled: 1-line block ×4, first 2 shown]
	v_and_b32_e32 v0, 3, v188
	s_delay_alu instid0(VALU_DEP_4) | instskip(NEXT) | instid1(VALU_DEP_3)
	v_add_f64_e64 v[58:59], v[72:73], -v[58:59]
	v_add_f64_e64 v[56:57], v[70:71], -v[56:57]
	s_delay_alu instid0(VALU_DEP_2) | instskip(SKIP_2) | instid1(VALU_DEP_3)
	v_fma_f64 v[68:69], v[72:73], 2.0, -v[58:59]
	s_wait_loadcnt 0x1
	v_fma_f64 v[62:63], v[66:67], 2.0, -v[4:5]
	v_fma_f64 v[66:67], v[70:71], 2.0, -v[56:57]
	;; [unrolled: 1-line block ×3, first 2 shown]
	s_wait_loadcnt 0x0
	v_and_or_b32 v0, 0xff0, v1, v0
	s_delay_alu instid0(VALU_DEP_1)
	v_lshlrev_b32_e32 v0, 4, v0
	ds_store_b128 v0, v[66:69]
	ds_store_b128 v0, v[60:63] offset:64
	ds_store_b128 v0, v[56:59] offset:128
	;; [unrolled: 1-line block ×3, first 2 shown]
.LBB0_15:
	s_wait_alu 0xfffe
	s_or_b32 exec_lo, exec_lo, s1
	v_and_b32_e32 v108, 15, v188
	global_wb scope:SCOPE_SE
	s_wait_storecnt_dscnt 0x0
	s_barrier_signal -1
	s_barrier_wait -1
	global_inv scope:SCOPE_SE
	v_mad_co_u64_u32 v[96:97], null, 0xa0, v108, s[2:3]
	s_mov_b32 s30, 0xf8bb580b
	s_mov_b32 s26, 0x8eee2c13
	;; [unrolled: 1-line block ×6, first 2 shown]
	s_clause 0x3
	global_load_b128 v[4:7], v[96:97], off offset:224
	global_load_b128 v[0:3], v[96:97], off offset:368
	;; [unrolled: 1-line block ×4, first 2 shown]
	ds_load_b128 v[76:79], v187 offset:2816
	ds_load_b128 v[72:75], v187 offset:28160
	ds_load_b128 v[109:112], v187
	s_mov_b32 s27, 0xbfed1bb4
	s_mov_b32 s25, 0xbfefac9e
	;; [unrolled: 1-line block ×22, first 2 shown]
	s_wait_loadcnt_dscnt 0x302
	v_mul_f64_e32 v[80:81], v[78:79], v[6:7]
	v_mul_f64_e32 v[82:83], v[76:77], v[6:7]
	s_wait_loadcnt_dscnt 0x201
	v_mul_f64_e32 v[84:85], v[72:73], v[2:3]
	v_mul_f64_e32 v[86:87], v[74:75], v[2:3]
	s_clause 0x1
	scratch_store_b128 off, v[4:7], off offset:232
	scratch_store_b128 off, v[0:3], off offset:212
	s_wait_loadcnt 0x1
	scratch_store_b128 off, v[8:11], off offset:268 ; 16-byte Folded Spill
	v_fma_f64 v[117:118], v[76:77], v[4:5], -v[80:81]
	v_fma_f64 v[119:120], v[78:79], v[4:5], v[82:83]
	ds_load_b128 v[76:79], v187 offset:5632
	v_fma_f64 v[143:144], v[74:75], v[0:1], v[84:85]
	v_fma_f64 v[141:142], v[72:73], v[0:1], -v[86:87]
	ds_load_b128 v[72:75], v187 offset:8448
	s_wait_dscnt 0x1
	v_mul_f64_e32 v[80:81], v[78:79], v[10:11]
	v_add_f64_e32 v[210:211], v[109:110], v[117:118]
	v_add_f64_e32 v[212:213], v[111:112], v[119:120]
	;; [unrolled: 1-line block ×3, first 2 shown]
	s_delay_alu instid0(VALU_DEP_4) | instskip(SKIP_1) | instid1(VALU_DEP_1)
	v_fma_f64 v[145:146], v[76:77], v[8:9], -v[80:81]
	v_mul_f64_e32 v[76:77], v[76:77], v[10:11]
	v_fma_f64 v[147:148], v[78:79], v[8:9], v[76:77]
	ds_load_b128 v[76:79], v187 offset:25344
	ds_load_b128 v[98:101], v187 offset:22528
	s_wait_loadcnt 0x0
	scratch_store_b128 off, v[12:15], off offset:284 ; 16-byte Folded Spill
	s_wait_dscnt 0x1
	v_mul_f64_e32 v[80:81], v[76:77], v[14:15]
	s_delay_alu instid0(VALU_DEP_1)
	v_fma_f64 v[149:150], v[78:79], v[12:13], v[80:81]
	s_clause 0x3
	global_load_b128 v[84:87], v[96:97], off offset:256
	global_load_b128 v[80:83], v[96:97], off offset:272
	global_load_b128 v[92:95], v[96:97], off offset:336
	global_load_b128 v[88:91], v[96:97], off offset:320
	v_mul_f64_e32 v[78:79], v[78:79], v[14:15]
	v_add_f64_e32 v[226:227], v[147:148], v[149:150]
	s_delay_alu instid0(VALU_DEP_2) | instskip(NEXT) | instid1(VALU_DEP_1)
	v_fma_f64 v[151:152], v[76:77], v[12:13], -v[78:79]
	v_add_f64_e32 v[220:221], v[145:146], v[151:152]
	v_add_f64_e64 v[224:225], v[145:146], -v[151:152]
	s_delay_alu instid0(VALU_DEP_1) | instskip(SKIP_3) | instid1(VALU_DEP_1)
	v_mul_f64_e32 v[228:229], s[26:27], v[224:225]
	v_mul_f64_e32 v[202:203], s[22:23], v[224:225]
	;; [unrolled: 1-line block ×3, first 2 shown]
	s_wait_alu 0xfffe
	v_fma_f64 v[10:11], v[226:227], s[10:11], v[8:9]
	v_fma_f64 v[8:9], v[226:227], s[10:11], -v[8:9]
	s_wait_loadcnt 0x3
	v_mul_f64_e32 v[76:77], v[74:75], v[86:87]
	s_delay_alu instid0(VALU_DEP_1) | instskip(SKIP_1) | instid1(VALU_DEP_1)
	v_fma_f64 v[153:154], v[72:73], v[84:85], -v[76:77]
	v_mul_f64_e32 v[72:73], v[72:73], v[86:87]
	v_fma_f64 v[155:156], v[74:75], v[84:85], v[72:73]
	s_wait_loadcnt_dscnt 0x100
	v_mul_f64_e32 v[72:73], v[98:99], v[94:95]
	s_delay_alu instid0(VALU_DEP_1) | instskip(SKIP_1) | instid1(VALU_DEP_2)
	v_fma_f64 v[157:158], v[100:101], v[92:93], v[72:73]
	v_mul_f64_e32 v[72:73], v[100:101], v[94:95]
	v_add_f64_e32 v[236:237], v[155:156], v[157:158]
	s_delay_alu instid0(VALU_DEP_2)
	v_fma_f64 v[159:160], v[98:99], v[92:93], -v[72:73]
	ds_load_b128 v[72:75], v187 offset:11264
	ds_load_b128 v[76:79], v187 offset:14080
	s_wait_dscnt 0x1
	v_mul_f64_e32 v[98:99], v[74:75], v[82:83]
	v_add_f64_e32 v[230:231], v[153:154], v[159:160]
	v_add_f64_e64 v[234:235], v[153:154], -v[159:160]
	s_delay_alu instid0(VALU_DEP_3) | instskip(SKIP_1) | instid1(VALU_DEP_3)
	v_fma_f64 v[161:162], v[72:73], v[80:81], -v[98:99]
	v_mul_f64_e32 v[72:73], v[72:73], v[82:83]
	v_mul_f64_e32 v[238:239], s[24:25], v[234:235]
	;; [unrolled: 1-line block ×3, first 2 shown]
	s_delay_alu instid0(VALU_DEP_3) | instskip(SKIP_4) | instid1(VALU_DEP_1)
	v_fma_f64 v[163:164], v[74:75], v[80:81], v[72:73]
	ds_load_b128 v[72:75], v187 offset:19712
	ds_load_b128 v[113:116], v187 offset:16896
	s_wait_loadcnt_dscnt 0x1
	v_mul_f64_e32 v[98:99], v[74:75], v[90:91]
	v_fma_f64 v[165:166], v[72:73], v[88:89], -v[98:99]
	s_clause 0x1
	global_load_b128 v[100:103], v[96:97], off offset:288
	global_load_b128 v[96:99], v[96:97], off offset:304
	v_mul_f64_e32 v[72:73], v[72:73], v[90:91]
	global_wb scope:SCOPE_SE
	s_wait_storecnt 0x0
	s_wait_loadcnt_dscnt 0x0
	s_barrier_signal -1
	s_barrier_wait -1
	global_inv scope:SCOPE_SE
	v_add_f64_e32 v[242:243], v[161:162], v[165:166]
	v_add_f64_e64 v[246:247], v[161:162], -v[165:166]
	v_fma_f64 v[167:168], v[74:75], v[88:89], v[72:73]
	s_delay_alu instid0(VALU_DEP_2) | instskip(NEXT) | instid1(VALU_DEP_2)
	v_mul_f64_e32 v[250:251], s[22:23], v[246:247]
	v_add_f64_e64 v[240:241], v[163:164], -v[167:168]
	v_add_f64_e32 v[248:249], v[163:164], v[167:168]
	v_mul_f64_e32 v[204:205], s[38:39], v[246:247]
	s_delay_alu instid0(VALU_DEP_3) | instskip(SKIP_3) | instid1(VALU_DEP_2)
	v_mul_f64_e32 v[244:245], s[22:23], v[240:241]
	v_mul_f64_e32 v[189:190], s[38:39], v[240:241]
	;; [unrolled: 1-line block ×4, first 2 shown]
	v_fma_f64 v[18:19], v[242:243], s[28:29], -v[16:17]
	s_delay_alu instid0(VALU_DEP_2) | instskip(SKIP_2) | instid1(VALU_DEP_1)
	v_fma_f64 v[26:27], v[242:243], s[10:11], -v[24:25]
	v_fma_f64 v[24:25], v[242:243], s[10:11], v[24:25]
	v_mul_f64_e32 v[72:73], v[78:79], v[102:103]
	v_fma_f64 v[169:170], v[76:77], v[100:101], -v[72:73]
	v_mul_f64_e32 v[72:73], v[76:77], v[102:103]
	s_delay_alu instid0(VALU_DEP_1) | instskip(SKIP_1) | instid1(VALU_DEP_1)
	v_fma_f64 v[171:172], v[78:79], v[100:101], v[72:73]
	v_mul_f64_e32 v[72:73], v[115:116], v[98:99]
	v_fma_f64 v[173:174], v[113:114], v[96:97], -v[72:73]
	v_mul_f64_e32 v[72:73], v[113:114], v[98:99]
	s_delay_alu instid0(VALU_DEP_2) | instskip(NEXT) | instid1(VALU_DEP_2)
	v_add_f64_e32 v[254:255], v[169:170], v[173:174]
	v_fma_f64 v[175:176], v[115:116], v[96:97], v[72:73]
	v_add_f64_e64 v[72:73], v[119:120], -v[143:144]
	v_add_f64_e32 v[115:116], v[117:118], v[141:142]
	v_add_f64_e64 v[191:192], v[169:170], -v[173:174]
	s_delay_alu instid0(VALU_DEP_4) | instskip(NEXT) | instid1(VALU_DEP_4)
	v_add_f64_e64 v[252:253], v[171:172], -v[175:176]
	v_mul_f64_e32 v[74:75], s[30:31], v[72:73]
	v_mul_f64_e32 v[76:77], s[26:27], v[72:73]
	;; [unrolled: 1-line block ×5, first 2 shown]
	v_add_f64_e32 v[193:194], v[171:172], v[175:176]
	v_mul_f64_e32 v[198:199], s[20:21], v[191:192]
	v_mul_f64_e32 v[196:197], s[20:21], v[252:253]
	v_fma_f64 v[121:122], v[115:116], s[28:29], -v[74:75]
	v_fma_f64 v[74:75], v[115:116], s[28:29], v[74:75]
	v_fma_f64 v[123:124], v[115:116], s[14:15], -v[76:77]
	v_fma_f64 v[76:77], v[115:116], s[14:15], v[76:77]
	;; [unrolled: 2-line block ×5, first 2 shown]
	v_add_f64_e64 v[115:116], v[117:118], -v[141:142]
	v_mul_f64_e32 v[0:1], s[34:35], v[252:253]
	v_mul_f64_e32 v[20:21], s[22:23], v[252:253]
	;; [unrolled: 1-line block ×3, first 2 shown]
	v_add_f64_e32 v[74:75], v[109:110], v[74:75]
	v_add_f64_e32 v[119:120], v[109:110], v[123:124]
	;; [unrolled: 1-line block ×6, first 2 shown]
	v_mul_f64_e32 v[131:132], s[30:31], v[115:116]
	v_mul_f64_e32 v[133:134], s[26:27], v[115:116]
	;; [unrolled: 1-line block ×5, first 2 shown]
	v_fma_f64 v[2:3], v[254:255], s[28:29], -v[0:1]
	v_fma_f64 v[22:23], v[254:255], s[12:13], -v[20:21]
	v_fma_f64 v[30:31], v[254:255], s[14:15], -v[28:29]
	v_fma_f64 v[0:1], v[254:255], s[28:29], v[0:1]
	v_fma_f64 v[208:209], v[139:140], s[28:29], -v[131:132]
	v_fma_f64 v[131:132], v[139:140], s[28:29], v[131:132]
	v_fma_f64 v[177:178], v[139:140], s[14:15], v[133:134]
	v_fma_f64 v[133:134], v[139:140], s[14:15], -v[133:134]
	v_fma_f64 v[179:180], v[139:140], s[18:19], v[135:136]
	v_fma_f64 v[135:136], v[139:140], s[18:19], -v[135:136]
	;; [unrolled: 2-line block ×4, first 2 shown]
	v_add_f64_e32 v[139:140], v[109:110], v[121:122]
	v_add_f64_e32 v[117:118], v[111:112], v[208:209]
	;; [unrolled: 1-line block ×3, first 2 shown]
	v_add_f64_e64 v[131:132], v[147:148], -v[149:150]
	v_add_f64_e32 v[121:122], v[111:112], v[177:178]
	v_add_f64_e32 v[177:178], v[109:110], v[76:77]
	;; [unrolled: 1-line block ×5, first 2 shown]
	v_fma_f64 v[78:79], v[226:227], s[12:13], v[202:203]
	v_add_f64_e32 v[181:182], v[111:112], v[181:182]
	v_add_f64_e32 v[206:207], v[111:112], v[206:207]
	v_add_f64_e32 v[216:217], v[111:112], v[115:116]
	v_add_f64_e32 v[137:138], v[111:112], v[137:138]
	v_add_f64_e32 v[135:136], v[111:112], v[135:136]
	v_add_f64_e32 v[133:134], v[111:112], v[133:134]
	v_mul_f64_e32 v[222:223], s[26:27], v[131:132]
	v_mul_f64_e32 v[200:201], s[22:23], v[131:132]
	;; [unrolled: 1-line block ×3, first 2 shown]
	v_add_f64_e32 v[10:11], v[10:11], v[125:126]
	v_mul_f64_e32 v[125:126], s[38:39], v[224:225]
	v_add_f64_e32 v[78:79], v[78:79], v[121:122]
	v_mul_f64_e32 v[121:122], s[34:35], v[224:225]
	v_add_f64_e32 v[8:9], v[8:9], v[135:136]
	v_fma_f64 v[72:73], v[220:221], s[14:15], v[222:223]
	v_fma_f64 v[6:7], v[220:221], s[10:11], -v[4:5]
	v_fma_f64 v[4:5], v[220:221], s[10:11], v[4:5]
	v_fma_f64 v[113:114], v[226:227], s[18:19], v[125:126]
	s_delay_alu instid0(VALU_DEP_4)
	v_add_f64_e32 v[72:73], v[72:73], v[74:75]
	v_fma_f64 v[74:75], v[226:227], s[14:15], -v[228:229]
	v_add_f64_e32 v[6:7], v[6:7], v[123:124]
	v_fma_f64 v[123:124], v[226:227], s[28:29], v[121:122]
	v_add_f64_e32 v[113:114], v[113:114], v[181:182]
	v_mul_f64_e32 v[181:182], s[30:31], v[234:235]
	v_fma_f64 v[121:122], v[226:227], s[28:29], -v[121:122]
	v_add_f64_e32 v[4:5], v[4:5], v[179:180]
	v_add_f64_e32 v[74:75], v[74:75], v[117:118]
	v_add_f64_e64 v[117:118], v[155:156], -v[157:158]
	v_add_f64_e32 v[123:124], v[123:124], v[206:207]
	v_add_f64_e32 v[121:122], v[121:122], v[216:217]
	s_delay_alu instid0(VALU_DEP_3) | instskip(SKIP_2) | instid1(VALU_DEP_3)
	v_mul_f64_e32 v[232:233], s[24:25], v[117:118]
	v_mul_f64_e32 v[183:184], s[40:41], v[117:118]
	;; [unrolled: 1-line block ×3, first 2 shown]
	v_fma_f64 v[76:77], v[230:231], s[18:19], v[232:233]
	s_delay_alu instid0(VALU_DEP_3) | instskip(NEXT) | instid1(VALU_DEP_3)
	v_fma_f64 v[109:110], v[230:231], s[10:11], -v[183:184]
	v_fma_f64 v[14:15], v[230:231], s[14:15], -v[12:13]
	s_delay_alu instid0(VALU_DEP_3) | instskip(SKIP_1) | instid1(VALU_DEP_3)
	v_add_f64_e32 v[72:73], v[76:77], v[72:73]
	v_fma_f64 v[76:77], v[236:237], s[18:19], -v[238:239]
	v_add_f64_e32 v[6:7], v[14:15], v[6:7]
	v_mul_f64_e32 v[14:15], s[36:37], v[234:235]
	s_delay_alu instid0(VALU_DEP_3) | instskip(SKIP_1) | instid1(VALU_DEP_4)
	v_add_f64_e32 v[74:75], v[76:77], v[74:75]
	v_fma_f64 v[76:77], v[242:243], s[12:13], v[244:245]
	v_add_f64_e32 v[6:7], v[18:19], v[6:7]
	v_mul_f64_e32 v[18:19], s[30:31], v[246:247]
	s_delay_alu instid0(VALU_DEP_3) | instskip(SKIP_1) | instid1(VALU_DEP_1)
	v_add_f64_e32 v[72:73], v[76:77], v[72:73]
	v_fma_f64 v[76:77], v[248:249], s[12:13], -v[250:251]
	v_add_f64_e32 v[74:75], v[76:77], v[74:75]
	v_fma_f64 v[76:77], v[254:255], s[10:11], v[196:197]
	s_delay_alu instid0(VALU_DEP_1) | instskip(SKIP_1) | instid1(VALU_DEP_1)
	v_add_f64_e32 v[72:73], v[76:77], v[72:73]
	v_fma_f64 v[76:77], v[193:194], s[10:11], -v[198:199]
	v_add_f64_e32 v[74:75], v[76:77], v[74:75]
	v_fma_f64 v[76:77], v[220:221], s[12:13], -v[200:201]
	s_delay_alu instid0(VALU_DEP_1) | instskip(NEXT) | instid1(VALU_DEP_1)
	v_add_f64_e32 v[76:77], v[76:77], v[119:120]
	v_add_f64_e32 v[76:77], v[109:110], v[76:77]
	v_fma_f64 v[109:110], v[236:237], s[10:11], v[185:186]
	s_delay_alu instid0(VALU_DEP_1) | instskip(SKIP_1) | instid1(VALU_DEP_1)
	v_add_f64_e32 v[78:79], v[109:110], v[78:79]
	v_fma_f64 v[109:110], v[242:243], s[18:19], -v[189:190]
	v_add_f64_e32 v[76:77], v[109:110], v[76:77]
	v_fma_f64 v[109:110], v[248:249], s[18:19], v[204:205]
	s_delay_alu instid0(VALU_DEP_2) | instskip(SKIP_1) | instid1(VALU_DEP_3)
	v_add_f64_e32 v[76:77], v[2:3], v[76:77]
	v_mul_f64_e32 v[2:3], s[34:35], v[191:192]
	v_add_f64_e32 v[78:79], v[109:110], v[78:79]
	s_delay_alu instid0(VALU_DEP_2) | instskip(SKIP_1) | instid1(VALU_DEP_2)
	v_fma_f64 v[109:110], v[193:194], s[28:29], v[2:3]
	v_fma_f64 v[2:3], v[193:194], s[28:29], -v[2:3]
	v_add_f64_e32 v[78:79], v[109:110], v[78:79]
	v_fma_f64 v[109:110], v[236:237], s[14:15], v[14:15]
	s_delay_alu instid0(VALU_DEP_1) | instskip(SKIP_1) | instid1(VALU_DEP_1)
	v_add_f64_e32 v[10:11], v[109:110], v[10:11]
	v_fma_f64 v[109:110], v[248:249], s[28:29], v[18:19]
	v_add_f64_e32 v[10:11], v[109:110], v[10:11]
	v_add_f64_e32 v[109:110], v[22:23], v[6:7]
	v_mul_f64_e32 v[6:7], s[22:23], v[191:192]
	s_delay_alu instid0(VALU_DEP_1) | instskip(SKIP_1) | instid1(VALU_DEP_2)
	v_fma_f64 v[22:23], v[193:194], s[12:13], v[6:7]
	v_fma_f64 v[6:7], v[193:194], s[12:13], -v[6:7]
	v_add_f64_e32 v[111:112], v[22:23], v[10:11]
	v_mul_f64_e32 v[10:11], s[38:39], v[131:132]
	s_delay_alu instid0(VALU_DEP_1) | instskip(SKIP_1) | instid1(VALU_DEP_2)
	v_fma_f64 v[22:23], v[220:221], s[18:19], -v[10:11]
	v_fma_f64 v[10:11], v[220:221], s[18:19], v[10:11]
	v_add_f64_e32 v[22:23], v[22:23], v[127:128]
	v_mul_f64_e32 v[127:128], s[30:31], v[117:118]
	s_delay_alu instid0(VALU_DEP_3) | instskip(NEXT) | instid1(VALU_DEP_2)
	v_add_f64_e32 v[10:11], v[10:11], v[208:209]
	v_fma_f64 v[115:116], v[230:231], s[28:29], -v[127:128]
	s_delay_alu instid0(VALU_DEP_1) | instskip(SKIP_1) | instid1(VALU_DEP_2)
	v_add_f64_e32 v[22:23], v[115:116], v[22:23]
	v_fma_f64 v[115:116], v[236:237], s[28:29], v[181:182]
	v_add_f64_e32 v[22:23], v[26:27], v[22:23]
	v_mul_f64_e32 v[26:27], s[20:21], v[246:247]
	s_delay_alu instid0(VALU_DEP_3) | instskip(NEXT) | instid1(VALU_DEP_2)
	v_add_f64_e32 v[113:114], v[115:116], v[113:114]
	v_fma_f64 v[115:116], v[248:249], s[10:11], v[26:27]
	s_delay_alu instid0(VALU_DEP_1) | instskip(SKIP_3) | instid1(VALU_DEP_2)
	v_add_f64_e32 v[115:116], v[115:116], v[113:114]
	v_add_f64_e32 v[113:114], v[30:31], v[22:23]
	v_mul_f64_e32 v[22:23], s[36:37], v[191:192]
	v_mul_f64_e32 v[191:192], s[24:25], v[191:192]
	v_fma_f64 v[30:31], v[193:194], s[14:15], v[22:23]
	v_fma_f64 v[22:23], v[193:194], s[14:15], -v[22:23]
	s_delay_alu instid0(VALU_DEP_2) | instskip(SKIP_2) | instid1(VALU_DEP_2)
	v_add_f64_e32 v[115:116], v[30:31], v[115:116]
	v_mul_f64_e32 v[30:31], s[34:35], v[131:132]
	v_mul_f64_e32 v[131:132], s[22:23], v[234:235]
	v_fma_f64 v[119:120], v[220:221], s[28:29], -v[30:31]
	v_fma_f64 v[30:31], v[220:221], s[28:29], v[30:31]
	s_delay_alu instid0(VALU_DEP_2) | instskip(SKIP_1) | instid1(VALU_DEP_3)
	v_add_f64_e32 v[119:120], v[119:120], v[129:130]
	v_mul_f64_e32 v[129:130], s[22:23], v[117:118]
	v_add_f64_e32 v[30:31], v[30:31], v[214:215]
	s_delay_alu instid0(VALU_DEP_2) | instskip(SKIP_1) | instid1(VALU_DEP_2)
	v_fma_f64 v[117:118], v[230:231], s[12:13], -v[129:130]
	v_fma_f64 v[129:130], v[230:231], s[12:13], v[129:130]
	v_add_f64_e32 v[117:118], v[117:118], v[119:120]
	v_fma_f64 v[119:120], v[236:237], s[12:13], v[131:132]
	s_delay_alu instid0(VALU_DEP_3) | instskip(SKIP_1) | instid1(VALU_DEP_3)
	v_add_f64_e32 v[30:31], v[129:130], v[30:31]
	v_fma_f64 v[129:130], v[236:237], s[12:13], -v[131:132]
	v_add_f64_e32 v[119:120], v[119:120], v[123:124]
	v_mul_f64_e32 v[123:124], s[36:37], v[240:241]
	s_delay_alu instid0(VALU_DEP_3) | instskip(SKIP_1) | instid1(VALU_DEP_3)
	v_add_f64_e32 v[121:122], v[129:130], v[121:122]
	v_fma_f64 v[129:130], v[193:194], s[18:19], -v[191:192]
	v_fma_f64 v[206:207], v[242:243], s[14:15], -v[123:124]
	v_fma_f64 v[123:124], v[242:243], s[14:15], v[123:124]
	s_delay_alu instid0(VALU_DEP_2) | instskip(SKIP_1) | instid1(VALU_DEP_3)
	v_add_f64_e32 v[117:118], v[206:207], v[117:118]
	v_mul_f64_e32 v[206:207], s[36:37], v[246:247]
	v_add_f64_e32 v[30:31], v[123:124], v[30:31]
	s_delay_alu instid0(VALU_DEP_2) | instskip(SKIP_1) | instid1(VALU_DEP_2)
	v_fma_f64 v[224:225], v[248:249], s[14:15], v[206:207]
	v_fma_f64 v[123:124], v[248:249], s[14:15], -v[206:207]
	v_add_f64_e32 v[119:120], v[224:225], v[119:120]
	v_mul_f64_e32 v[224:225], s[24:25], v[252:253]
	s_delay_alu instid0(VALU_DEP_3) | instskip(NEXT) | instid1(VALU_DEP_2)
	v_add_f64_e32 v[123:124], v[123:124], v[121:122]
	v_fma_f64 v[121:122], v[254:255], s[18:19], v[224:225]
	s_delay_alu instid0(VALU_DEP_2) | instskip(SKIP_1) | instid1(VALU_DEP_3)
	v_add_f64_e32 v[123:124], v[129:130], v[123:124]
	v_fma_f64 v[234:235], v[254:255], s[18:19], -v[224:225]
	v_add_f64_e32 v[121:122], v[121:122], v[30:31]
	v_fma_f64 v[30:31], v[226:227], s[18:19], -v[125:126]
	v_fma_f64 v[125:126], v[230:231], s[28:29], v[127:128]
	s_delay_alu instid0(VALU_DEP_4) | instskip(SKIP_1) | instid1(VALU_DEP_4)
	v_add_f64_e32 v[117:118], v[234:235], v[117:118]
	v_fma_f64 v[234:235], v[193:194], s[18:19], v[191:192]
	v_add_f64_e32 v[30:31], v[30:31], v[137:138]
	s_delay_alu instid0(VALU_DEP_4) | instskip(SKIP_1) | instid1(VALU_DEP_4)
	v_add_f64_e32 v[10:11], v[125:126], v[10:11]
	v_fma_f64 v[125:126], v[236:237], s[28:29], -v[181:182]
	v_add_f64_e32 v[119:120], v[234:235], v[119:120]
	s_delay_alu instid0(VALU_DEP_3) | instskip(SKIP_3) | instid1(VALU_DEP_2)
	v_add_f64_e32 v[10:11], v[24:25], v[10:11]
	v_fma_f64 v[24:25], v[248:249], s[10:11], -v[26:27]
	v_fma_f64 v[26:27], v[254:255], s[14:15], v[28:29]
	v_add_f64_e32 v[30:31], v[125:126], v[30:31]
	v_add_f64_e32 v[125:126], v[26:27], v[10:11]
	v_fma_f64 v[10:11], v[230:231], s[14:15], v[12:13]
	s_delay_alu instid0(VALU_DEP_3) | instskip(NEXT) | instid1(VALU_DEP_2)
	v_add_f64_e32 v[24:25], v[24:25], v[30:31]
	v_add_f64_e32 v[4:5], v[10:11], v[4:5]
	v_fma_f64 v[10:11], v[236:237], s[14:15], -v[14:15]
	s_delay_alu instid0(VALU_DEP_3) | instskip(NEXT) | instid1(VALU_DEP_2)
	v_add_f64_e32 v[127:128], v[22:23], v[24:25]
	v_add_f64_e32 v[8:9], v[10:11], v[8:9]
	v_fma_f64 v[10:11], v[242:243], s[28:29], v[16:17]
	s_delay_alu instid0(VALU_DEP_1) | instskip(SKIP_1) | instid1(VALU_DEP_1)
	v_add_f64_e32 v[4:5], v[10:11], v[4:5]
	v_fma_f64 v[10:11], v[248:249], s[28:29], -v[18:19]
	v_add_f64_e32 v[8:9], v[10:11], v[8:9]
	v_fma_f64 v[10:11], v[254:255], s[12:13], v[20:21]
	s_delay_alu instid0(VALU_DEP_2) | instskip(NEXT) | instid1(VALU_DEP_2)
	v_add_f64_e32 v[131:132], v[6:7], v[8:9]
	v_add_f64_e32 v[129:130], v[10:11], v[4:5]
	v_fma_f64 v[4:5], v[220:221], s[12:13], v[200:201]
	v_fma_f64 v[6:7], v[226:227], s[12:13], -v[202:203]
	v_fma_f64 v[8:9], v[230:231], s[10:11], v[183:184]
	v_fma_f64 v[10:11], v[248:249], s[12:13], v[250:251]
	s_delay_alu instid0(VALU_DEP_4) | instskip(NEXT) | instid1(VALU_DEP_4)
	v_add_f64_e32 v[4:5], v[4:5], v[177:178]
	v_add_f64_e32 v[6:7], v[6:7], v[133:134]
	s_delay_alu instid0(VALU_DEP_2) | instskip(SKIP_1) | instid1(VALU_DEP_1)
	v_add_f64_e32 v[4:5], v[8:9], v[4:5]
	v_fma_f64 v[8:9], v[236:237], s[10:11], -v[185:186]
	v_add_f64_e32 v[6:7], v[8:9], v[6:7]
	v_fma_f64 v[8:9], v[242:243], s[18:19], v[189:190]
	s_delay_alu instid0(VALU_DEP_1) | instskip(SKIP_1) | instid1(VALU_DEP_2)
	v_add_f64_e32 v[4:5], v[8:9], v[4:5]
	v_fma_f64 v[8:9], v[248:249], s[18:19], -v[204:205]
	v_add_f64_e32 v[133:134], v[0:1], v[4:5]
	s_delay_alu instid0(VALU_DEP_2) | instskip(SKIP_3) | instid1(VALU_DEP_4)
	v_add_f64_e32 v[6:7], v[8:9], v[6:7]
	v_fma_f64 v[0:1], v[220:221], s[14:15], -v[222:223]
	v_fma_f64 v[4:5], v[230:231], s[18:19], -v[232:233]
	;; [unrolled: 1-line block ×3, first 2 shown]
	v_add_f64_e32 v[135:136], v[2:3], v[6:7]
	v_fma_f64 v[2:3], v[226:227], s[14:15], v[228:229]
	v_fma_f64 v[6:7], v[236:237], s[18:19], v[238:239]
	v_add_f64_e32 v[0:1], v[0:1], v[139:140]
	s_delay_alu instid0(VALU_DEP_3) | instskip(NEXT) | instid1(VALU_DEP_2)
	v_add_f64_e32 v[2:3], v[2:3], v[218:219]
	v_add_f64_e32 v[0:1], v[4:5], v[0:1]
	v_fma_f64 v[4:5], v[254:255], s[10:11], -v[196:197]
	s_delay_alu instid0(VALU_DEP_3) | instskip(SKIP_1) | instid1(VALU_DEP_4)
	v_add_f64_e32 v[2:3], v[6:7], v[2:3]
	v_fma_f64 v[6:7], v[193:194], s[10:11], v[198:199]
	v_add_f64_e32 v[0:1], v[8:9], v[0:1]
	s_delay_alu instid0(VALU_DEP_3) | instskip(NEXT) | instid1(VALU_DEP_2)
	v_add_f64_e32 v[2:3], v[10:11], v[2:3]
	v_add_f64_e32 v[137:138], v[4:5], v[0:1]
	;; [unrolled: 1-line block ×3, first 2 shown]
	s_delay_alu instid0(VALU_DEP_3) | instskip(SKIP_1) | instid1(VALU_DEP_3)
	v_add_f64_e32 v[139:140], v[6:7], v[2:3]
	v_add_f64_e32 v[2:3], v[212:213], v[147:148]
	;; [unrolled: 1-line block ×3, first 2 shown]
	s_delay_alu instid0(VALU_DEP_2) | instskip(NEXT) | instid1(VALU_DEP_2)
	v_add_f64_e32 v[2:3], v[2:3], v[155:156]
	v_add_f64_e32 v[0:1], v[0:1], v[161:162]
	s_delay_alu instid0(VALU_DEP_2) | instskip(NEXT) | instid1(VALU_DEP_2)
	v_add_f64_e32 v[2:3], v[2:3], v[163:164]
	v_add_f64_e32 v[0:1], v[0:1], v[169:170]
	;; [unrolled: 3-line block ×7, first 2 shown]
	v_lshrrev_b32_e32 v0, 4, v188
	s_delay_alu instid0(VALU_DEP_1) | instskip(NEXT) | instid1(VALU_DEP_1)
	v_mul_u32_u24_e32 v0, 0xb0, v0
	v_or_b32_e32 v0, v0, v108
	s_delay_alu instid0(VALU_DEP_1)
	v_lshlrev_b32_e32 v206, 4, v0
	v_add_f64_e32 v[143:144], v[2:3], v[143:144]
	ds_store_b128 v206, v[76:79] offset:512
	ds_store_b128 v206, v[109:112] offset:768
	;; [unrolled: 1-line block ×10, first 2 shown]
	ds_store_b128 v206, v[141:144]
	v_mad_co_u64_u32 v[132:133], null, 0xa0, v188, s[2:3]
	global_wb scope:SCOPE_SE
	s_wait_dscnt 0x0
	s_barrier_signal -1
	s_barrier_wait -1
	global_inv scope:SCOPE_SE
	ds_load_b128 v[108:111], v187 offset:2816
	ds_load_b128 v[207:210], v187
	s_clause 0x1
	global_load_b128 v[4:7], v[132:133], off offset:2784
	global_load_b128 v[8:11], v[132:133], off offset:2800
	s_add_nc_u64 s[2:3], s[16:17], 0x7900
	s_wait_loadcnt_dscnt 0x101
	v_mul_f64_e32 v[0:1], v[110:111], v[6:7]
	v_mul_f64_e32 v[2:3], v[108:109], v[6:7]
	scratch_store_b128 off, v[4:7], off offset:304 ; 16-byte Folded Spill
	v_fma_f64 v[0:1], v[108:109], v[4:5], -v[0:1]
	v_fma_f64 v[2:3], v[110:111], v[4:5], v[2:3]
	s_clause 0x1
	global_load_b128 v[112:115], v[132:133], off offset:2928
	global_load_b128 v[108:111], v[132:133], off offset:2912
	ds_load_b128 v[116:119], v187 offset:28160
	s_wait_loadcnt_dscnt 0x100
	v_mul_f64_e32 v[4:5], v[116:117], v[114:115]
	s_delay_alu instid0(VALU_DEP_1) | instskip(SKIP_1) | instid1(VALU_DEP_2)
	v_fma_f64 v[140:141], v[118:119], v[112:113], v[4:5]
	v_mul_f64_e32 v[4:5], v[118:119], v[114:115]
	v_add_f64_e32 v[178:179], v[2:3], v[140:141]
	s_delay_alu instid0(VALU_DEP_2)
	v_fma_f64 v[142:143], v[116:117], v[112:113], -v[4:5]
	ds_load_b128 v[116:119], v187 offset:5632
	ds_load_b128 v[124:127], v187 offset:8448
	scratch_store_b128 off, v[8:11], off offset:320 ; 16-byte Folded Spill
	s_wait_dscnt 0x1
	v_mul_f64_e32 v[4:5], v[118:119], v[10:11]
	v_add_f64_e32 v[14:15], v[0:1], v[142:143]
	s_delay_alu instid0(VALU_DEP_2) | instskip(SKIP_1) | instid1(VALU_DEP_1)
	v_fma_f64 v[148:149], v[116:117], v[8:9], -v[4:5]
	v_mul_f64_e32 v[4:5], v[116:117], v[10:11]
	v_fma_f64 v[150:151], v[118:119], v[8:9], v[4:5]
	ds_load_b128 v[116:119], v187 offset:25344
	ds_load_b128 v[134:137], v187 offset:22528
	s_wait_loadcnt_dscnt 0x1
	v_mul_f64_e32 v[4:5], v[116:117], v[110:111]
	s_delay_alu instid0(VALU_DEP_1) | instskip(SKIP_1) | instid1(VALU_DEP_2)
	v_fma_f64 v[144:145], v[118:119], v[108:109], v[4:5]
	v_mul_f64_e32 v[4:5], v[118:119], v[110:111]
	v_add_f64_e32 v[200:201], v[150:151], v[144:145]
	s_delay_alu instid0(VALU_DEP_2)
	v_fma_f64 v[146:147], v[116:117], v[108:109], -v[4:5]
	s_clause 0x1
	global_load_b128 v[120:123], v[132:133], off offset:2816
	global_load_b128 v[116:119], v[132:133], off offset:2832
	s_wait_loadcnt 0x1
	v_mul_f64_e32 v[4:5], v[126:127], v[122:123]
	s_delay_alu instid0(VALU_DEP_1) | instskip(SKIP_1) | instid1(VALU_DEP_1)
	v_fma_f64 v[156:157], v[124:125], v[120:121], -v[4:5]
	v_mul_f64_e32 v[4:5], v[124:125], v[122:123]
	v_fma_f64 v[158:159], v[126:127], v[120:121], v[4:5]
	s_clause 0x1
	global_load_b128 v[128:131], v[132:133], off offset:2896
	global_load_b128 v[124:127], v[132:133], off offset:2880
	s_wait_loadcnt_dscnt 0x100
	v_mul_f64_e32 v[4:5], v[134:135], v[130:131]
	s_delay_alu instid0(VALU_DEP_1) | instskip(SKIP_1) | instid1(VALU_DEP_2)
	v_fma_f64 v[152:153], v[136:137], v[128:129], v[4:5]
	v_mul_f64_e32 v[4:5], v[136:137], v[130:131]
	v_add_f64_e32 v[245:246], v[158:159], v[152:153]
	s_delay_alu instid0(VALU_DEP_2)
	v_fma_f64 v[154:155], v[134:135], v[128:129], -v[4:5]
	ds_load_b128 v[134:137], v187 offset:11264
	ds_load_b128 v[166:169], v187 offset:14080
	s_wait_dscnt 0x1
	v_mul_f64_e32 v[4:5], v[136:137], v[118:119]
	v_add_f64_e32 v[243:244], v[156:157], v[154:155]
	v_add_f64_e64 v[239:240], v[156:157], -v[154:155]
	s_delay_alu instid0(VALU_DEP_3) | instskip(SKIP_1) | instid1(VALU_DEP_3)
	v_fma_f64 v[160:161], v[134:135], v[116:117], -v[4:5]
	v_mul_f64_e32 v[4:5], v[134:135], v[118:119]
	v_mul_f64_e32 v[237:238], s[40:41], v[239:240]
	;; [unrolled: 1-line block ×4, first 2 shown]
	s_delay_alu instid0(VALU_DEP_4)
	v_fma_f64 v[162:163], v[136:137], v[116:117], v[4:5]
	s_clause 0x1
	global_load_b128 v[136:139], v[132:133], off offset:2848
	global_load_b128 v[132:135], v[132:133], off offset:2864
	ds_load_b128 v[170:173], v187 offset:16896
	ds_load_b128 v[174:177], v187 offset:19712
	s_wait_loadcnt_dscnt 0x102
	v_mul_f64_e32 v[4:5], v[168:169], v[138:139]
	s_delay_alu instid0(VALU_DEP_1) | instskip(SKIP_1) | instid1(VALU_DEP_1)
	v_fma_f64 v[164:165], v[166:167], v[136:137], -v[4:5]
	v_mul_f64_e32 v[4:5], v[166:167], v[138:139]
	v_fma_f64 v[166:167], v[168:169], v[136:137], v[4:5]
	s_wait_loadcnt_dscnt 0x1
	v_mul_f64_e32 v[4:5], v[172:173], v[134:135]
	s_delay_alu instid0(VALU_DEP_1) | instskip(SKIP_1) | instid1(VALU_DEP_2)
	v_fma_f64 v[168:169], v[170:171], v[132:133], -v[4:5]
	v_mul_f64_e32 v[4:5], v[170:171], v[134:135]
	v_add_f64_e32 v[36:37], v[164:165], v[168:169]
	s_delay_alu instid0(VALU_DEP_2) | instskip(SKIP_2) | instid1(VALU_DEP_2)
	v_fma_f64 v[170:171], v[172:173], v[132:133], v[4:5]
	s_wait_dscnt 0x0
	v_mul_f64_e32 v[4:5], v[176:177], v[126:127]
	v_add_f64_e32 v[104:105], v[166:167], v[170:171]
	s_delay_alu instid0(VALU_DEP_2) | instskip(SKIP_1) | instid1(VALU_DEP_2)
	v_fma_f64 v[172:173], v[174:175], v[124:125], -v[4:5]
	v_mul_f64_e32 v[4:5], v[174:175], v[126:127]
	v_add_f64_e64 v[251:252], v[160:161], -v[172:173]
	s_delay_alu instid0(VALU_DEP_2) | instskip(SKIP_2) | instid1(VALU_DEP_4)
	v_fma_f64 v[174:175], v[176:177], v[124:125], v[4:5]
	v_add_f64_e64 v[4:5], v[2:3], -v[140:141]
	v_add_f64_e32 v[247:248], v[160:161], v[172:173]
	v_mul_f64_e32 v[32:33], s[38:39], v[251:252]
	s_delay_alu instid0(VALU_DEP_4) | instskip(NEXT) | instid1(VALU_DEP_4)
	v_add_f64_e32 v[253:254], v[162:163], v[174:175]
	v_mul_f64_e32 v[6:7], s[30:31], v[4:5]
	v_mul_f64_e32 v[8:9], s[26:27], v[4:5]
	v_mul_f64_e32 v[10:11], s[24:25], v[4:5]
	v_mul_f64_e32 v[12:13], s[22:23], v[4:5]
	v_mul_f64_e32 v[4:5], s[20:21], v[4:5]
	v_add_f64_e64 v[241:242], v[162:163], -v[174:175]
	v_fma_f64 v[34:35], v[253:254], s[18:19], v[32:33]
	v_fma_f64 v[16:17], v[14:15], s[28:29], -v[6:7]
	v_fma_f64 v[6:7], v[14:15], s[28:29], v[6:7]
	v_fma_f64 v[18:19], v[14:15], s[14:15], -v[8:9]
	;; [unrolled: 2-line block ×5, first 2 shown]
	v_fma_f64 v[4:5], v[14:15], s[10:11], v[4:5]
	v_add_f64_e64 v[14:15], v[0:1], -v[142:143]
	v_add_f64_e32 v[0:1], v[207:208], v[0:1]
	v_mul_f64_e32 v[249:250], s[38:39], v[241:242]
	v_mul_f64_e32 v[56:57], s[30:31], v[241:242]
	;; [unrolled: 1-line block ×4, first 2 shown]
	v_add_f64_e32 v[8:9], v[207:208], v[8:9]
	v_add_f64_e32 v[20:21], v[207:208], v[20:21]
	v_add_f64_e32 v[10:11], v[207:208], v[10:11]
	v_add_f64_e32 v[22:23], v[207:208], v[22:23]
	v_add_f64_e32 v[12:13], v[207:208], v[12:13]
	v_add_f64_e32 v[24:25], v[207:208], v[24:25]
	v_add_f64_e32 v[4:5], v[207:208], v[4:5]
	v_mul_f64_e32 v[26:27], s[30:31], v[14:15]
	v_mul_f64_e32 v[28:29], s[26:27], v[14:15]
	;; [unrolled: 1-line block ×5, first 2 shown]
	scratch_store_b64 off, v[0:1], off offset:336 ; 8-byte Folded Spill
	v_mul_f64_e32 v[0:1], s[36:37], v[239:240]
	v_fma_f64 v[58:59], v[247:248], s[28:29], -v[56:57]
	v_fma_f64 v[66:67], v[247:248], s[10:11], -v[64:65]
	v_fma_f64 v[74:75], v[247:248], s[14:15], -v[72:73]
	v_fma_f64 v[180:181], v[178:179], s[28:29], v[26:27]
	v_fma_f64 v[184:185], v[178:179], s[14:15], v[28:29]
	v_fma_f64 v[28:29], v[178:179], s[14:15], -v[28:29]
	v_fma_f64 v[189:190], v[178:179], s[18:19], v[30:31]
	v_fma_f64 v[30:31], v[178:179], s[18:19], -v[30:31]
	;; [unrolled: 2-line block ×3, first 2 shown]
	v_fma_f64 v[193:194], v[178:179], s[12:13], -v[176:177]
	v_fma_f64 v[196:197], v[178:179], s[10:11], v[14:15]
	v_fma_f64 v[14:15], v[178:179], s[10:11], -v[14:15]
	v_add_f64_e32 v[178:179], v[209:210], v[2:3]
	v_add_f64_e32 v[2:3], v[207:208], v[16:17]
	;; [unrolled: 1-line block ×8, first 2 shown]
	v_add_f64_e64 v[191:192], v[150:151], -v[144:145]
	v_add_f64_e32 v[182:183], v[209:210], v[26:27]
	v_add_f64_e32 v[16:17], v[209:210], v[184:185]
	;; [unrolled: 1-line block ×7, first 2 shown]
	v_mul_f64_e32 v[196:197], s[22:23], v[191:192]
	s_delay_alu instid0(VALU_DEP_1) | instskip(NEXT) | instid1(VALU_DEP_1)
	v_fma_f64 v[198:199], v[193:194], s[12:13], -v[196:197]
	v_add_f64_e32 v[6:7], v[198:199], v[6:7]
	v_add_f64_e64 v[198:199], v[148:149], -v[146:147]
	s_delay_alu instid0(VALU_DEP_1) | instskip(SKIP_1) | instid1(VALU_DEP_2)
	v_mul_f64_e32 v[202:203], s[22:23], v[198:199]
	v_mul_f64_e32 v[231:232], s[40:41], v[198:199]
	v_fma_f64 v[204:205], v[200:201], s[12:13], v[202:203]
	s_delay_alu instid0(VALU_DEP_1) | instskip(SKIP_1) | instid1(VALU_DEP_1)
	v_add_f64_e32 v[16:17], v[204:205], v[16:17]
	v_add_f64_e64 v[204:205], v[158:159], -v[152:153]
	v_mul_f64_e32 v[235:236], s[40:41], v[204:205]
	v_mul_f64_e32 v[233:234], s[36:37], v[204:205]
	;; [unrolled: 1-line block ×4, first 2 shown]
	s_delay_alu instid0(VALU_DEP_4) | instskip(NEXT) | instid1(VALU_DEP_1)
	v_fma_f64 v[207:208], v[243:244], s[10:11], -v[235:236]
	v_add_f64_e32 v[6:7], v[207:208], v[6:7]
	v_fma_f64 v[207:208], v[245:246], s[10:11], v[237:238]
	s_delay_alu instid0(VALU_DEP_1) | instskip(SKIP_1) | instid1(VALU_DEP_2)
	v_add_f64_e32 v[16:17], v[207:208], v[16:17]
	v_fma_f64 v[207:208], v[247:248], s[18:19], -v[249:250]
	v_add_f64_e32 v[16:17], v[34:35], v[16:17]
	v_add_f64_e64 v[34:35], v[166:167], -v[170:171]
	s_delay_alu instid0(VALU_DEP_3) | instskip(NEXT) | instid1(VALU_DEP_2)
	v_add_f64_e32 v[6:7], v[207:208], v[6:7]
	v_mul_f64_e32 v[38:39], s[34:35], v[34:35]
	v_mul_f64_e32 v[60:61], s[22:23], v[34:35]
	;; [unrolled: 1-line block ×4, first 2 shown]
	s_delay_alu instid0(VALU_DEP_4) | instskip(NEXT) | instid1(VALU_DEP_4)
	v_fma_f64 v[207:208], v[36:37], s[28:29], -v[38:39]
	v_fma_f64 v[62:63], v[36:37], s[12:13], -v[60:61]
	s_delay_alu instid0(VALU_DEP_4) | instskip(NEXT) | instid1(VALU_DEP_4)
	v_fma_f64 v[70:71], v[36:37], s[14:15], -v[68:69]
	v_fma_f64 v[78:79], v[36:37], s[18:19], -v[76:77]
	s_delay_alu instid0(VALU_DEP_4) | instskip(SKIP_1) | instid1(VALU_DEP_1)
	v_add_f64_e32 v[207:208], v[207:208], v[6:7]
	v_add_f64_e64 v[6:7], v[164:165], -v[168:169]
	v_mul_f64_e32 v[106:107], s[34:35], v[6:7]
	s_delay_alu instid0(VALU_DEP_1) | instskip(NEXT) | instid1(VALU_DEP_1)
	v_fma_f64 v[209:210], v[104:105], s[28:29], v[106:107]
	v_add_f64_e32 v[209:210], v[209:210], v[16:17]
	v_mul_f64_e32 v[16:17], s[40:41], v[191:192]
	s_delay_alu instid0(VALU_DEP_1) | instskip(NEXT) | instid1(VALU_DEP_1)
	v_fma_f64 v[211:212], v[193:194], s[10:11], -v[16:17]
	v_add_f64_e32 v[20:21], v[211:212], v[20:21]
	v_fma_f64 v[211:212], v[200:201], s[10:11], v[231:232]
	s_delay_alu instid0(VALU_DEP_1) | instskip(SKIP_1) | instid1(VALU_DEP_1)
	v_add_f64_e32 v[26:27], v[211:212], v[26:27]
	v_fma_f64 v[211:212], v[243:244], s[14:15], -v[233:234]
	v_add_f64_e32 v[20:21], v[211:212], v[20:21]
	v_fma_f64 v[211:212], v[245:246], s[14:15], v[0:1]
	v_fma_f64 v[0:1], v[245:246], s[14:15], -v[0:1]
	s_delay_alu instid0(VALU_DEP_3) | instskip(SKIP_1) | instid1(VALU_DEP_4)
	v_add_f64_e32 v[20:21], v[58:59], v[20:21]
	v_mul_f64_e32 v[58:59], s[30:31], v[251:252]
	v_add_f64_e32 v[26:27], v[211:212], v[26:27]
	s_delay_alu instid0(VALU_DEP_2) | instskip(NEXT) | instid1(VALU_DEP_1)
	v_fma_f64 v[211:212], v[253:254], s[28:29], v[58:59]
	v_add_f64_e32 v[26:27], v[211:212], v[26:27]
	v_add_f64_e32 v[211:212], v[62:63], v[20:21]
	v_mul_f64_e32 v[20:21], s[22:23], v[6:7]
	s_delay_alu instid0(VALU_DEP_1) | instskip(NEXT) | instid1(VALU_DEP_1)
	v_fma_f64 v[62:63], v[104:105], s[12:13], v[20:21]
	v_add_f64_e32 v[213:214], v[62:63], v[26:27]
	v_mul_f64_e32 v[26:27], s[38:39], v[191:192]
	s_delay_alu instid0(VALU_DEP_1) | instskip(NEXT) | instid1(VALU_DEP_1)
	v_fma_f64 v[62:63], v[193:194], s[18:19], -v[26:27]
	v_add_f64_e32 v[22:23], v[62:63], v[22:23]
	v_mul_f64_e32 v[62:63], s[38:39], v[198:199]
	s_delay_alu instid0(VALU_DEP_1) | instskip(NEXT) | instid1(VALU_DEP_1)
	v_fma_f64 v[215:216], v[200:201], s[18:19], v[62:63]
	v_add_f64_e32 v[30:31], v[215:216], v[30:31]
	v_fma_f64 v[215:216], v[243:244], s[28:29], -v[227:228]
	s_delay_alu instid0(VALU_DEP_1) | instskip(SKIP_1) | instid1(VALU_DEP_2)
	v_add_f64_e32 v[22:23], v[215:216], v[22:23]
	v_fma_f64 v[215:216], v[245:246], s[28:29], v[229:230]
	v_add_f64_e32 v[22:23], v[66:67], v[22:23]
	v_mul_f64_e32 v[66:67], s[20:21], v[251:252]
	s_delay_alu instid0(VALU_DEP_3) | instskip(NEXT) | instid1(VALU_DEP_2)
	v_add_f64_e32 v[30:31], v[215:216], v[30:31]
	v_fma_f64 v[215:216], v[253:254], s[10:11], v[66:67]
	s_delay_alu instid0(VALU_DEP_1) | instskip(SKIP_2) | instid1(VALU_DEP_1)
	v_add_f64_e32 v[30:31], v[215:216], v[30:31]
	v_add_f64_e32 v[215:216], v[70:71], v[22:23]
	v_mul_f64_e32 v[22:23], s[36:37], v[6:7]
	v_fma_f64 v[70:71], v[104:105], s[14:15], v[22:23]
	v_fma_f64 v[22:23], v[104:105], s[14:15], -v[22:23]
	s_delay_alu instid0(VALU_DEP_2) | instskip(SKIP_1) | instid1(VALU_DEP_1)
	v_add_f64_e32 v[217:218], v[70:71], v[30:31]
	v_mul_f64_e32 v[30:31], s[34:35], v[191:192]
	v_fma_f64 v[70:71], v[193:194], s[28:29], -v[30:31]
	v_fma_f64 v[30:31], v[193:194], s[28:29], v[30:31]
	s_delay_alu instid0(VALU_DEP_2) | instskip(SKIP_1) | instid1(VALU_DEP_3)
	v_add_f64_e32 v[24:25], v[70:71], v[24:25]
	v_mul_f64_e32 v[70:71], s[34:35], v[198:199]
	v_add_f64_e32 v[4:5], v[30:31], v[4:5]
	s_delay_alu instid0(VALU_DEP_2) | instskip(SKIP_1) | instid1(VALU_DEP_2)
	v_fma_f64 v[219:220], v[200:201], s[28:29], v[70:71]
	v_fma_f64 v[30:31], v[200:201], s[28:29], -v[70:71]
	v_add_f64_e32 v[189:190], v[219:220], v[189:190]
	v_fma_f64 v[219:220], v[243:244], s[12:13], -v[223:224]
	s_delay_alu instid0(VALU_DEP_3) | instskip(SKIP_1) | instid1(VALU_DEP_3)
	v_add_f64_e32 v[14:15], v[30:31], v[14:15]
	v_fma_f64 v[30:31], v[243:244], s[12:13], v[223:224]
	v_add_f64_e32 v[24:25], v[219:220], v[24:25]
	v_fma_f64 v[219:220], v[245:246], s[12:13], v[225:226]
	s_delay_alu instid0(VALU_DEP_3) | instskip(SKIP_1) | instid1(VALU_DEP_4)
	v_add_f64_e32 v[4:5], v[30:31], v[4:5]
	v_fma_f64 v[30:31], v[245:246], s[12:13], -v[225:226]
	v_add_f64_e32 v[24:25], v[74:75], v[24:25]
	v_mul_f64_e32 v[74:75], s[36:37], v[251:252]
	v_add_f64_e32 v[189:190], v[219:220], v[189:190]
	s_delay_alu instid0(VALU_DEP_4) | instskip(SKIP_1) | instid1(VALU_DEP_4)
	v_add_f64_e32 v[14:15], v[30:31], v[14:15]
	v_fma_f64 v[30:31], v[247:248], s[14:15], v[72:73]
	v_fma_f64 v[219:220], v[253:254], s[14:15], v[74:75]
	s_delay_alu instid0(VALU_DEP_2) | instskip(SKIP_1) | instid1(VALU_DEP_3)
	v_add_f64_e32 v[4:5], v[30:31], v[4:5]
	v_fma_f64 v[30:31], v[253:254], s[14:15], -v[74:75]
	v_add_f64_e32 v[189:190], v[219:220], v[189:190]
	v_add_f64_e32 v[219:220], v[78:79], v[24:25]
	v_mul_f64_e32 v[24:25], s[24:25], v[6:7]
	v_mul_f64_e32 v[6:7], s[20:21], v[6:7]
	v_add_f64_e32 v[14:15], v[30:31], v[14:15]
	v_fma_f64 v[30:31], v[36:37], s[18:19], v[76:77]
	s_delay_alu instid0(VALU_DEP_4) | instskip(SKIP_1) | instid1(VALU_DEP_3)
	v_fma_f64 v[78:79], v[104:105], s[18:19], v[24:25]
	v_fma_f64 v[24:25], v[104:105], s[18:19], -v[24:25]
	v_add_f64_e32 v[223:224], v[30:31], v[4:5]
	v_fma_f64 v[4:5], v[193:194], s[18:19], v[26:27]
	s_delay_alu instid0(VALU_DEP_4) | instskip(NEXT) | instid1(VALU_DEP_4)
	v_add_f64_e32 v[221:222], v[78:79], v[189:190]
	v_add_f64_e32 v[225:226], v[24:25], v[14:15]
	v_fma_f64 v[14:15], v[243:244], s[28:29], v[227:228]
	s_delay_alu instid0(VALU_DEP_4) | instskip(SKIP_1) | instid1(VALU_DEP_2)
	v_add_f64_e32 v[4:5], v[4:5], v[12:13]
	v_fma_f64 v[12:13], v[200:201], s[18:19], -v[62:63]
	v_add_f64_e32 v[4:5], v[14:15], v[4:5]
	s_delay_alu instid0(VALU_DEP_2) | instskip(SKIP_1) | instid1(VALU_DEP_1)
	v_add_f64_e32 v[12:13], v[12:13], v[184:185]
	v_fma_f64 v[14:15], v[245:246], s[28:29], -v[229:230]
	v_add_f64_e32 v[12:13], v[14:15], v[12:13]
	v_fma_f64 v[14:15], v[247:248], s[10:11], v[64:65]
	s_delay_alu instid0(VALU_DEP_1) | instskip(SKIP_1) | instid1(VALU_DEP_1)
	v_add_f64_e32 v[4:5], v[14:15], v[4:5]
	v_fma_f64 v[14:15], v[253:254], s[10:11], -v[66:67]
	v_add_f64_e32 v[12:13], v[14:15], v[12:13]
	v_fma_f64 v[14:15], v[36:37], s[14:15], v[68:69]
	s_delay_alu instid0(VALU_DEP_2) | instskip(NEXT) | instid1(VALU_DEP_2)
	v_add_f64_e32 v[229:230], v[22:23], v[12:13]
	v_add_f64_e32 v[227:228], v[14:15], v[4:5]
	v_fma_f64 v[4:5], v[193:194], s[10:11], v[16:17]
	v_fma_f64 v[12:13], v[243:244], s[14:15], v[233:234]
	s_delay_alu instid0(VALU_DEP_2) | instskip(SKIP_1) | instid1(VALU_DEP_2)
	v_add_f64_e32 v[4:5], v[4:5], v[10:11]
	v_fma_f64 v[10:11], v[200:201], s[10:11], -v[231:232]
	v_add_f64_e32 v[4:5], v[12:13], v[4:5]
	s_delay_alu instid0(VALU_DEP_2) | instskip(SKIP_1) | instid1(VALU_DEP_2)
	v_add_f64_e32 v[10:11], v[10:11], v[28:29]
	v_fma_f64 v[12:13], v[104:105], s[12:13], -v[20:21]
	v_add_f64_e32 v[0:1], v[0:1], v[10:11]
	v_fma_f64 v[10:11], v[247:248], s[28:29], v[56:57]
	s_delay_alu instid0(VALU_DEP_1) | instskip(SKIP_1) | instid1(VALU_DEP_1)
	v_add_f64_e32 v[4:5], v[10:11], v[4:5]
	v_fma_f64 v[10:11], v[253:254], s[28:29], -v[58:59]
	v_add_f64_e32 v[0:1], v[10:11], v[0:1]
	v_fma_f64 v[10:11], v[36:37], s[12:13], v[60:61]
	s_delay_alu instid0(VALU_DEP_2) | instskip(SKIP_1) | instid1(VALU_DEP_3)
	v_add_f64_e32 v[233:234], v[12:13], v[0:1]
	v_fma_f64 v[0:1], v[193:194], s[12:13], v[196:197]
	v_add_f64_e32 v[231:232], v[10:11], v[4:5]
	v_fma_f64 v[4:5], v[200:201], s[12:13], -v[202:203]
	v_fma_f64 v[10:11], v[104:105], s[28:29], -v[106:107]
	s_delay_alu instid0(VALU_DEP_4) | instskip(SKIP_1) | instid1(VALU_DEP_4)
	v_add_f64_e32 v[0:1], v[0:1], v[8:9]
	v_fma_f64 v[8:9], v[243:244], s[10:11], v[235:236]
	v_add_f64_e32 v[4:5], v[4:5], v[18:19]
	s_delay_alu instid0(VALU_DEP_2) | instskip(SKIP_1) | instid1(VALU_DEP_1)
	v_add_f64_e32 v[0:1], v[8:9], v[0:1]
	v_fma_f64 v[8:9], v[245:246], s[10:11], -v[237:238]
	v_add_f64_e32 v[4:5], v[8:9], v[4:5]
	v_fma_f64 v[8:9], v[247:248], s[18:19], v[249:250]
	s_delay_alu instid0(VALU_DEP_1) | instskip(SKIP_1) | instid1(VALU_DEP_1)
	v_add_f64_e32 v[0:1], v[8:9], v[0:1]
	v_fma_f64 v[8:9], v[253:254], s[18:19], -v[32:33]
	v_add_f64_e32 v[4:5], v[8:9], v[4:5]
	v_fma_f64 v[8:9], v[36:37], s[28:29], v[38:39]
	s_delay_alu instid0(VALU_DEP_2) | instskip(NEXT) | instid1(VALU_DEP_2)
	v_add_f64_e32 v[237:238], v[10:11], v[4:5]
	v_add_f64_e32 v[235:236], v[8:9], v[0:1]
	v_mul_f64_e32 v[0:1], s[26:27], v[191:192]
	v_mul_f64_e32 v[10:11], s[24:25], v[204:205]
	s_delay_alu instid0(VALU_DEP_2) | instskip(NEXT) | instid1(VALU_DEP_2)
	v_fma_f64 v[4:5], v[193:194], s[14:15], -v[0:1]
	v_fma_f64 v[12:13], v[243:244], s[18:19], -v[10:11]
	v_fma_f64 v[0:1], v[193:194], s[14:15], v[0:1]
	s_delay_alu instid0(VALU_DEP_3) | instskip(SKIP_1) | instid1(VALU_DEP_3)
	v_add_f64_e32 v[2:3], v[4:5], v[2:3]
	v_mul_f64_e32 v[4:5], s[26:27], v[198:199]
	v_add_f64_e32 v[0:1], v[0:1], v[180:181]
	s_delay_alu instid0(VALU_DEP_3) | instskip(NEXT) | instid1(VALU_DEP_3)
	v_add_f64_e32 v[2:3], v[12:13], v[2:3]
	v_fma_f64 v[8:9], v[200:201], s[14:15], v[4:5]
	v_mul_f64_e32 v[12:13], s[24:25], v[239:240]
	s_delay_alu instid0(VALU_DEP_2) | instskip(NEXT) | instid1(VALU_DEP_2)
	v_add_f64_e32 v[8:9], v[8:9], v[176:177]
	v_fma_f64 v[14:15], v[245:246], s[18:19], v[12:13]
	s_delay_alu instid0(VALU_DEP_1) | instskip(SKIP_1) | instid1(VALU_DEP_1)
	v_add_f64_e32 v[8:9], v[14:15], v[8:9]
	v_mul_f64_e32 v[14:15], s[22:23], v[241:242]
	v_fma_f64 v[16:17], v[247:248], s[12:13], -v[14:15]
	s_delay_alu instid0(VALU_DEP_1) | instskip(SKIP_1) | instid1(VALU_DEP_1)
	v_add_f64_e32 v[2:3], v[16:17], v[2:3]
	v_mul_f64_e32 v[16:17], s[22:23], v[251:252]
	v_fma_f64 v[18:19], v[253:254], s[12:13], v[16:17]
	s_delay_alu instid0(VALU_DEP_1) | instskip(SKIP_1) | instid1(VALU_DEP_1)
	v_add_f64_e32 v[8:9], v[18:19], v[8:9]
	v_mul_f64_e32 v[18:19], s[20:21], v[34:35]
	v_fma_f64 v[20:21], v[36:37], s[10:11], -v[18:19]
	s_delay_alu instid0(VALU_DEP_1) | instskip(SKIP_2) | instid1(VALU_DEP_2)
	v_add_f64_e32 v[239:240], v[20:21], v[2:3]
	v_fma_f64 v[2:3], v[104:105], s[10:11], v[6:7]
	v_fma_f64 v[6:7], v[104:105], s[10:11], -v[6:7]
	v_add_f64_e32 v[241:242], v[2:3], v[8:9]
	scratch_load_b64 v[2:3], off, off offset:336 th:TH_LOAD_LU ; 8-byte Folded Reload
	v_add_f64_e32 v[8:9], v[178:179], v[150:151]
	s_delay_alu instid0(VALU_DEP_1) | instskip(NEXT) | instid1(VALU_DEP_1)
	v_add_f64_e32 v[8:9], v[8:9], v[158:159]
	v_add_f64_e32 v[8:9], v[8:9], v[162:163]
	s_delay_alu instid0(VALU_DEP_1) | instskip(NEXT) | instid1(VALU_DEP_1)
	v_add_f64_e32 v[8:9], v[8:9], v[166:167]
	;; [unrolled: 3-line block ×3, first 2 shown]
	v_add_f64_e32 v[8:9], v[8:9], v[152:153]
	s_delay_alu instid0(VALU_DEP_1) | instskip(SKIP_2) | instid1(VALU_DEP_1)
	v_add_f64_e32 v[8:9], v[8:9], v[144:145]
	s_wait_loadcnt 0x0
	v_add_f64_e32 v[2:3], v[2:3], v[148:149]
	v_add_f64_e32 v[2:3], v[2:3], v[156:157]
	s_delay_alu instid0(VALU_DEP_1) | instskip(NEXT) | instid1(VALU_DEP_1)
	v_add_f64_e32 v[2:3], v[2:3], v[160:161]
	v_add_f64_e32 v[2:3], v[2:3], v[164:165]
	s_delay_alu instid0(VALU_DEP_1) | instskip(NEXT) | instid1(VALU_DEP_1)
	v_add_f64_e32 v[2:3], v[2:3], v[168:169]
	v_add_f64_e32 v[2:3], v[2:3], v[172:173]
	s_delay_alu instid0(VALU_DEP_1) | instskip(NEXT) | instid1(VALU_DEP_1)
	v_add_f64_e32 v[2:3], v[2:3], v[154:155]
	v_add_f64_e32 v[2:3], v[2:3], v[146:147]
	;; [unrolled: 1-line block ×3, first 2 shown]
	v_fma_f64 v[8:9], v[245:246], s[18:19], -v[12:13]
	v_fma_f64 v[12:13], v[253:254], s[12:13], -v[16:17]
	s_delay_alu instid0(VALU_DEP_4) | instskip(SKIP_3) | instid1(VALU_DEP_3)
	v_add_f64_e32 v[144:145], v[2:3], v[142:143]
	v_fma_f64 v[2:3], v[200:201], s[14:15], -v[4:5]
	v_fma_f64 v[4:5], v[243:244], s[18:19], v[10:11]
	v_fma_f64 v[10:11], v[247:248], s[12:13], v[14:15]
	v_add_f64_e32 v[2:3], v[2:3], v[182:183]
	s_delay_alu instid0(VALU_DEP_3) | instskip(SKIP_1) | instid1(VALU_DEP_3)
	v_add_f64_e32 v[0:1], v[4:5], v[0:1]
	v_fma_f64 v[4:5], v[36:37], s[10:11], v[18:19]
	v_add_f64_e32 v[2:3], v[8:9], v[2:3]
	s_delay_alu instid0(VALU_DEP_3) | instskip(NEXT) | instid1(VALU_DEP_2)
	v_add_f64_e32 v[0:1], v[10:11], v[0:1]
	v_add_f64_e32 v[2:3], v[12:13], v[2:3]
	s_delay_alu instid0(VALU_DEP_2) | instskip(NEXT) | instid1(VALU_DEP_2)
	v_add_f64_e32 v[140:141], v[4:5], v[0:1]
	v_add_f64_e32 v[142:143], v[6:7], v[2:3]
	ds_store_b128 v187, v[207:210] offset:5632
	ds_store_b128 v187, v[211:214] offset:8448
	;; [unrolled: 1-line block ×9, first 2 shown]
	ds_store_b128 v187, v[144:147]
	ds_store_b128 v187, v[140:143] offset:28160
	global_wb scope:SCOPE_SE
	s_wait_storecnt_dscnt 0x0
	s_barrier_signal -1
	s_barrier_wait -1
	global_inv scope:SCOPE_SE
	scratch_load_b64 v[201:202], off, off offset:152 ; 8-byte Folded Reload
	s_wait_loadcnt 0x0
	global_load_b128 v[144:147], v[201:202], off offset:30976
	ds_load_b128 v[148:151], v187
	ds_load_b128 v[152:155], v187 offset:2816
	s_clause 0x1
	global_load_b128 v[156:159], v187, s[2:3] offset:15488
	global_load_b128 v[164:167], v187, s[2:3] offset:18304
	ds_load_b128 v[160:163], v187 offset:15488
	ds_load_b128 v[168:171], v187 offset:11264
	s_clause 0x1
	global_load_b128 v[172:175], v187, s[2:3] offset:2816
	global_load_b128 v[176:179], v187, s[2:3] offset:5632
	s_wait_loadcnt_dscnt 0x403
	v_mul_f64_e32 v[0:1], v[150:151], v[146:147]
	v_mul_f64_e32 v[2:3], v[148:149], v[146:147]
	s_delay_alu instid0(VALU_DEP_2) | instskip(NEXT) | instid1(VALU_DEP_2)
	v_fma_f64 v[146:147], v[148:149], v[144:145], -v[0:1]
	v_fma_f64 v[148:149], v[150:151], v[144:145], v[2:3]
	s_wait_loadcnt_dscnt 0x301
	v_mul_f64_e32 v[0:1], v[162:163], v[158:159]
	v_mul_f64_e32 v[2:3], v[160:161], v[158:159]
	s_delay_alu instid0(VALU_DEP_2) | instskip(NEXT) | instid1(VALU_DEP_2)
	v_fma_f64 v[158:159], v[160:161], v[156:157], -v[0:1]
	v_fma_f64 v[160:161], v[162:163], v[156:157], v[2:3]
	s_wait_loadcnt 0x1
	v_mul_f64_e32 v[0:1], v[154:155], v[174:175]
	v_mul_f64_e32 v[2:3], v[152:153], v[174:175]
	s_delay_alu instid0(VALU_DEP_2) | instskip(NEXT) | instid1(VALU_DEP_2)
	v_fma_f64 v[150:151], v[152:153], v[172:173], -v[0:1]
	v_fma_f64 v[152:153], v[154:155], v[172:173], v[2:3]
	ds_load_b128 v[154:157], v187 offset:18304
	ds_load_b128 v[172:175], v187 offset:21120
	s_wait_dscnt 0x1
	v_mul_f64_e32 v[0:1], v[156:157], v[166:167]
	v_mul_f64_e32 v[2:3], v[154:155], v[166:167]
	s_delay_alu instid0(VALU_DEP_2) | instskip(NEXT) | instid1(VALU_DEP_2)
	v_fma_f64 v[154:155], v[154:155], v[164:165], -v[0:1]
	v_fma_f64 v[156:157], v[156:157], v[164:165], v[2:3]
	ds_load_b128 v[162:165], v187 offset:5632
	ds_load_b128 v[180:183], v187 offset:8448
	s_wait_loadcnt_dscnt 0x1
	v_mul_f64_e32 v[0:1], v[164:165], v[178:179]
	v_mul_f64_e32 v[2:3], v[162:163], v[178:179]
	s_delay_alu instid0(VALU_DEP_2) | instskip(NEXT) | instid1(VALU_DEP_2)
	v_fma_f64 v[162:163], v[162:163], v[176:177], -v[0:1]
	v_fma_f64 v[164:165], v[164:165], v[176:177], v[2:3]
	s_clause 0x1
	global_load_b128 v[176:179], v187, s[2:3] offset:21120
	global_load_b128 v[207:210], v187, s[2:3] offset:23936
	s_wait_loadcnt 0x1
	v_mul_f64_e32 v[0:1], v[174:175], v[178:179]
	v_mul_f64_e32 v[2:3], v[172:173], v[178:179]
	s_delay_alu instid0(VALU_DEP_2) | instskip(NEXT) | instid1(VALU_DEP_2)
	v_fma_f64 v[172:173], v[172:173], v[176:177], -v[0:1]
	v_fma_f64 v[174:175], v[174:175], v[176:177], v[2:3]
	s_clause 0x1
	global_load_b128 v[176:179], v187, s[2:3] offset:8448
	global_load_b128 v[211:214], v187, s[2:3] offset:11264
	ds_load_b128 v[215:218], v187 offset:23936
	ds_load_b128 v[219:222], v187 offset:26752
	s_wait_loadcnt_dscnt 0x102
	v_mul_f64_e32 v[0:1], v[182:183], v[178:179]
	v_mul_f64_e32 v[2:3], v[180:181], v[178:179]
	s_delay_alu instid0(VALU_DEP_2) | instskip(NEXT) | instid1(VALU_DEP_2)
	v_fma_f64 v[178:179], v[180:181], v[176:177], -v[0:1]
	v_fma_f64 v[180:181], v[182:183], v[176:177], v[2:3]
	s_wait_dscnt 0x1
	v_mul_f64_e32 v[0:1], v[217:218], v[209:210]
	v_mul_f64_e32 v[2:3], v[215:216], v[209:210]
	s_delay_alu instid0(VALU_DEP_2) | instskip(NEXT) | instid1(VALU_DEP_2)
	v_fma_f64 v[215:216], v[215:216], v[207:208], -v[0:1]
	v_fma_f64 v[217:218], v[217:218], v[207:208], v[2:3]
	global_load_b128 v[207:210], v187, s[2:3] offset:26752
	s_wait_loadcnt 0x1
	v_mul_f64_e32 v[0:1], v[170:171], v[213:214]
	v_mul_f64_e32 v[2:3], v[168:169], v[213:214]
	s_delay_alu instid0(VALU_DEP_2) | instskip(NEXT) | instid1(VALU_DEP_2)
	v_fma_f64 v[166:167], v[168:169], v[211:212], -v[0:1]
	v_fma_f64 v[168:169], v[170:171], v[211:212], v[2:3]
	s_wait_loadcnt_dscnt 0x0
	v_mul_f64_e32 v[0:1], v[221:222], v[209:210]
	v_mul_f64_e32 v[2:3], v[219:220], v[209:210]
	s_delay_alu instid0(VALU_DEP_2) | instskip(NEXT) | instid1(VALU_DEP_2)
	v_fma_f64 v[209:210], v[219:220], v[207:208], -v[0:1]
	v_fma_f64 v[211:212], v[221:222], v[207:208], v[2:3]
	ds_store_b128 v187, v[146:149]
	ds_store_b128 v187, v[150:153] offset:2816
	ds_store_b128 v187, v[154:157] offset:18304
	;; [unrolled: 1-line block ×9, first 2 shown]
	s_and_saveexec_b32 s1, vcc_lo
	s_cbranch_execz .LBB0_17
; %bb.16:
	s_wait_alu 0xfffe
	v_add_co_u32 v0, s2, s2, v187
	s_wait_alu 0xf1ff
	v_add_co_ci_u32_e64 v1, null, s3, 0, s2
	s_clause 0x1
	global_load_b128 v[144:147], v[0:1], off offset:14080
	global_load_b128 v[148:151], v[0:1], off offset:29568
	ds_load_b128 v[152:155], v187 offset:14080
	ds_load_b128 v[156:159], v187 offset:29568
	s_wait_loadcnt_dscnt 0x101
	v_mul_f64_e32 v[0:1], v[154:155], v[146:147]
	v_mul_f64_e32 v[2:3], v[152:153], v[146:147]
	s_wait_loadcnt_dscnt 0x0
	v_mul_f64_e32 v[4:5], v[158:159], v[150:151]
	v_mul_f64_e32 v[6:7], v[156:157], v[150:151]
	s_delay_alu instid0(VALU_DEP_4) | instskip(NEXT) | instid1(VALU_DEP_4)
	v_fma_f64 v[150:151], v[152:153], v[144:145], -v[0:1]
	v_fma_f64 v[152:153], v[154:155], v[144:145], v[2:3]
	s_delay_alu instid0(VALU_DEP_4) | instskip(NEXT) | instid1(VALU_DEP_4)
	v_fma_f64 v[144:145], v[156:157], v[148:149], -v[4:5]
	v_fma_f64 v[146:147], v[158:159], v[148:149], v[6:7]
	ds_store_b128 v187, v[150:153] offset:14080
	ds_store_b128 v187, v[144:147] offset:29568
.LBB0_17:
	s_wait_alu 0xfffe
	s_or_b32 exec_lo, exec_lo, s1
	global_wb scope:SCOPE_SE
	s_wait_dscnt 0x0
	s_barrier_signal -1
	s_barrier_wait -1
	global_inv scope:SCOPE_SE
	ds_load_b128 v[144:147], v187
	ds_load_b128 v[148:151], v187 offset:2816
	ds_load_b128 v[176:179], v187 offset:18304
	;; [unrolled: 1-line block ×9, first 2 shown]
	s_and_saveexec_b32 s1, vcc_lo
	s_cbranch_execz .LBB0_19
; %bb.18:
	ds_load_b128 v[140:143], v187 offset:14080
	ds_load_b128 v[0:3], v187 offset:29568
	s_wait_dscnt 0x0
	scratch_store_b128 off, v[0:3], off     ; 16-byte Folded Spill
.LBB0_19:
	s_wait_alu 0xfffe
	s_or_b32 exec_lo, exec_lo, s1
	scratch_load_b128 v[0:3], off, off th:TH_LOAD_LU ; 16-byte Folded Reload
	s_wait_dscnt 0x3
	v_add_f64_e64 v[180:181], v[144:145], -v[180:181]
	v_add_f64_e64 v[182:183], v[146:147], -v[182:183]
	global_wb scope:SCOPE_SE
	s_wait_storecnt 0x0
	s_wait_loadcnt_dscnt 0x0
	s_barrier_signal -1
	s_barrier_wait -1
	global_inv scope:SCOPE_SE
	v_add_f64_e64 v[176:177], v[148:149], -v[176:177]
	v_add_f64_e64 v[178:179], v[150:151], -v[178:179]
	v_add_f64_e64 v[172:173], v[156:157], -v[172:173]
	v_add_f64_e64 v[174:175], v[158:159], -v[174:175]
	v_add_f64_e64 v[168:169], v[152:153], -v[168:169]
	v_add_f64_e64 v[170:171], v[154:155], -v[170:171]
	v_add_f64_e64 v[164:165], v[160:161], -v[164:165]
	v_add_f64_e64 v[166:167], v[162:163], -v[166:167]
	v_fma_f64 v[207:208], v[144:145], 2.0, -v[180:181]
	v_fma_f64 v[209:210], v[146:147], 2.0, -v[182:183]
	;; [unrolled: 1-line block ×10, first 2 shown]
	v_add_f64_e64 v[104:105], v[140:141], -v[0:1]
	v_lshlrev_b32_e32 v0, 5, v188
	v_add_f64_e64 v[106:107], v[142:143], -v[2:3]
	ds_store_b128 v0, v[207:210]
	ds_store_b128 v0, v[180:183] offset:16
	scratch_load_b32 v0, off, off offset:192 th:TH_LOAD_LU ; 4-byte Folded Reload
	s_wait_loadcnt 0x0
	ds_store_b128 v0, v[148:151]
	ds_store_b128 v0, v[176:179] offset:16
	scratch_load_b32 v0, off, off offset:200 th:TH_LOAD_LU ; 4-byte Folded Reload
	v_fma_f64 v[144:145], v[140:141], 2.0, -v[104:105]
	v_fma_f64 v[146:147], v[142:143], 2.0, -v[106:107]
	s_wait_loadcnt 0x0
	ds_store_b128 v0, v[156:159]
	ds_store_b128 v0, v[172:175] offset:16
	scratch_load_b32 v0, off, off offset:204 th:TH_LOAD_LU ; 4-byte Folded Reload
	s_wait_loadcnt 0x0
	ds_store_b128 v0, v[152:155]
	ds_store_b128 v0, v[168:171] offset:16
	scratch_load_b32 v0, off, off offset:196 th:TH_LOAD_LU ; 4-byte Folded Reload
	s_wait_loadcnt 0x0
	ds_store_b128 v0, v[160:163]
	ds_store_b128 v0, v[164:167] offset:16
	s_and_saveexec_b32 s1, vcc_lo
	s_cbranch_execz .LBB0_21
; %bb.20:
	scratch_load_b32 v0, off, off offset:344 th:TH_LOAD_LU ; 4-byte Folded Reload
	s_wait_loadcnt 0x0
	ds_store_b128 v0, v[144:147]
	ds_store_b128 v0, v[104:107] offset:16
.LBB0_21:
	s_wait_alu 0xfffe
	s_or_b32 exec_lo, exec_lo, s1
	global_wb scope:SCOPE_SE
	s_wait_dscnt 0x0
	s_barrier_signal -1
	s_barrier_wait -1
	global_inv scope:SCOPE_SE
	ds_load_b128 v[148:151], v187
	ds_load_b128 v[152:155], v187 offset:2816
	ds_load_b128 v[140:143], v187 offset:18304
	;; [unrolled: 1-line block ×9, first 2 shown]
	s_and_saveexec_b32 s1, vcc_lo
	s_cbranch_execz .LBB0_23
; %bb.22:
	ds_load_b128 v[144:147], v187 offset:14080
	ds_load_b128 v[104:107], v187 offset:29568
.LBB0_23:
	s_wait_alu 0xfffe
	s_or_b32 exec_lo, exec_lo, s1
	s_wait_dscnt 0x3
	v_mul_f64_e32 v[0:1], v[54:55], v[182:183]
	v_mul_f64_e32 v[8:9], v[54:55], v[170:171]
	;; [unrolled: 1-line block ×3, first 2 shown]
	global_wb scope:SCOPE_SE
	s_wait_dscnt 0x0
	s_barrier_signal -1
	s_barrier_wait -1
	global_inv scope:SCOPE_SE
	v_mul_f64_e32 v[2:3], v[54:55], v[180:181]
	v_mul_f64_e32 v[4:5], v[54:55], v[142:143]
	;; [unrolled: 1-line block ×9, first 2 shown]
	v_fma_f64 v[0:1], v[52:53], v[180:181], v[0:1]
	v_fma_f64 v[8:9], v[52:53], v[168:169], v[8:9]
	v_fma_f64 v[10:11], v[52:53], v[170:171], -v[10:11]
	v_fma_f64 v[2:3], v[52:53], v[182:183], -v[2:3]
	v_fma_f64 v[4:5], v[52:53], v[140:141], v[4:5]
	v_fma_f64 v[6:7], v[52:53], v[142:143], -v[6:7]
	v_fma_f64 v[16:17], v[52:53], v[172:173], v[16:17]
	;; [unrolled: 2-line block ×4, first 2 shown]
	v_fma_f64 v[22:23], v[52:53], v[106:107], -v[22:23]
	v_add_f64_e64 v[168:169], v[148:149], -v[0:1]
	scratch_load_b32 v0, off, off offset:264 th:TH_LOAD_LU ; 4-byte Folded Reload
	v_add_f64_e64 v[176:177], v[160:161], -v[8:9]
	v_add_f64_e64 v[178:179], v[162:163], -v[10:11]
	;; [unrolled: 1-line block ×11, first 2 shown]
	v_fma_f64 v[148:149], v[148:149], 2.0, -v[168:169]
	v_fma_f64 v[160:161], v[160:161], 2.0, -v[176:177]
	;; [unrolled: 1-line block ×12, first 2 shown]
	s_wait_loadcnt 0x0
	ds_store_b128 v0, v[148:151]
	ds_store_b128 v0, v[168:171] offset:32
	scratch_load_b32 v0, off, off offset:260 th:TH_LOAD_LU ; 4-byte Folded Reload
	s_wait_loadcnt 0x0
	ds_store_b128 v0, v[152:155]
	ds_store_b128 v0, v[172:175] offset:32
	scratch_load_b32 v0, off, off offset:256 th:TH_LOAD_LU ; 4-byte Folded Reload
	s_wait_loadcnt 0x0
	ds_store_b128 v0, v[160:163]
	ds_store_b128 v0, v[176:179] offset:32
	scratch_load_b32 v0, off, off offset:248 th:TH_LOAD_LU ; 4-byte Folded Reload
	s_wait_loadcnt 0x0
	ds_store_b128 v0, v[156:159]
	ds_store_b128 v0, v[180:183] offset:32
	scratch_load_b32 v0, off, off offset:228 th:TH_LOAD_LU ; 4-byte Folded Reload
	s_wait_loadcnt 0x0
	ds_store_b128 v0, v[52:55]
	ds_store_b128 v0, v[104:107] offset:32
	s_and_saveexec_b32 s1, vcc_lo
	s_cbranch_execz .LBB0_25
; %bb.24:
	scratch_load_b32 v1, off, off offset:208 th:TH_LOAD_LU ; 4-byte Folded Reload
	v_and_b32_e32 v0, 1, v188
	s_wait_loadcnt 0x0
	s_delay_alu instid0(VALU_DEP_1) | instskip(NEXT) | instid1(VALU_DEP_1)
	v_and_or_b32 v0, 0x7fc, v1, v0
	v_lshlrev_b32_e32 v0, 4, v0
	ds_store_b128 v0, v[144:147]
	ds_store_b128 v0, v[140:143] offset:32
.LBB0_25:
	s_wait_alu 0xfffe
	s_or_b32 exec_lo, exec_lo, s1
	global_wb scope:SCOPE_SE
	s_wait_dscnt 0x0
	s_barrier_signal -1
	s_barrier_wait -1
	global_inv scope:SCOPE_SE
	ds_load_b128 v[148:151], v187
	ds_load_b128 v[152:155], v187 offset:2816
	ds_load_b128 v[168:171], v187 offset:7744
	;; [unrolled: 1-line block ×7, first 2 shown]
	s_and_saveexec_b32 s1, s0
	s_cbranch_execz .LBB0_27
; %bb.26:
	ds_load_b128 v[52:55], v187 offset:5632
	ds_load_b128 v[104:107], v187 offset:13376
	;; [unrolled: 1-line block ×4, first 2 shown]
.LBB0_27:
	s_wait_alu 0xfffe
	s_or_b32 exec_lo, exec_lo, s1
	s_wait_dscnt 0x5
	v_mul_f64_e32 v[0:1], v[50:51], v[170:171]
	s_wait_dscnt 0x3
	v_mul_f64_e32 v[4:5], v[46:47], v[174:175]
	;; [unrolled: 2-line block ×3, first 2 shown]
	v_mul_f64_e32 v[12:13], v[50:51], v[158:159]
	v_mul_f64_e32 v[14:15], v[50:51], v[156:157]
	global_wb scope:SCOPE_SE
	s_wait_dscnt 0x0
	s_barrier_signal -1
	s_barrier_wait -1
	global_inv scope:SCOPE_SE
	v_mul_f64_e32 v[2:3], v[50:51], v[168:169]
	v_mul_f64_e32 v[6:7], v[46:47], v[172:173]
	;; [unrolled: 1-line block ×7, first 2 shown]
	v_fma_f64 v[0:1], v[48:49], v[168:169], v[0:1]
	v_fma_f64 v[4:5], v[44:45], v[172:173], v[4:5]
	;; [unrolled: 1-line block ×4, first 2 shown]
	v_fma_f64 v[14:15], v[48:49], v[158:159], -v[14:15]
	v_fma_f64 v[2:3], v[48:49], v[170:171], -v[2:3]
	;; [unrolled: 1-line block ×4, first 2 shown]
	v_fma_f64 v[16:17], v[44:45], v[160:161], v[16:17]
	v_fma_f64 v[18:19], v[44:45], v[162:163], -v[18:19]
	v_fma_f64 v[20:21], v[40:41], v[164:165], v[20:21]
	v_fma_f64 v[22:23], v[40:41], v[166:167], -v[22:23]
	v_add_f64_e64 v[4:5], v[148:149], -v[4:5]
	v_add_f64_e64 v[8:9], v[0:1], -v[8:9]
	;; [unrolled: 1-line block ×8, first 2 shown]
	v_fma_f64 v[24:25], v[148:149], 2.0, -v[4:5]
	v_fma_f64 v[0:1], v[0:1], 2.0, -v[8:9]
	;; [unrolled: 1-line block ×8, first 2 shown]
	v_add_f64_e32 v[148:149], v[4:5], v[10:11]
	v_add_f64_e64 v[150:151], v[6:7], -v[8:9]
	v_add_f64_e32 v[152:153], v[16:17], v[22:23]
	v_add_f64_e64 v[154:155], v[18:19], -v[20:21]
	v_add_f64_e64 v[156:157], v[24:25], -v[0:1]
	scratch_load_b32 v0, off, off offset:300 th:TH_LOAD_LU ; 4-byte Folded Reload
	v_add_f64_e64 v[158:159], v[26:27], -v[2:3]
	v_add_f64_e64 v[160:161], v[28:29], -v[12:13]
	;; [unrolled: 1-line block ×3, first 2 shown]
	v_fma_f64 v[164:165], v[4:5], 2.0, -v[148:149]
	v_fma_f64 v[166:167], v[6:7], 2.0, -v[150:151]
	;; [unrolled: 1-line block ×8, first 2 shown]
	s_wait_loadcnt 0x0
	ds_store_b128 v0, v[156:159] offset:128
	ds_store_b128 v0, v[148:151] offset:192
	ds_store_b128 v0, v[172:175]
	ds_store_b128 v0, v[164:167] offset:64
	ds_store_b128 v195, v[176:179]
	ds_store_b128 v195, v[168:171] offset:64
	ds_store_b128 v195, v[160:163] offset:128
	;; [unrolled: 1-line block ×3, first 2 shown]
	s_and_saveexec_b32 s1, s0
	s_cbranch_execz .LBB0_29
; %bb.28:
	v_mul_f64_e32 v[0:1], v[46:47], v[144:145]
	v_mul_f64_e32 v[2:3], v[50:51], v[106:107]
	;; [unrolled: 1-line block ×6, first 2 shown]
	v_fma_f64 v[0:1], v[44:45], v[146:147], -v[0:1]
	v_fma_f64 v[2:3], v[48:49], v[104:105], v[2:3]
	v_fma_f64 v[10:11], v[40:41], v[140:141], v[10:11]
	v_fma_f64 v[6:7], v[40:41], v[142:143], -v[6:7]
	v_fma_f64 v[4:5], v[48:49], v[106:107], -v[4:5]
	v_fma_f64 v[8:9], v[44:45], v[144:145], v[8:9]
	v_add_f64_e64 v[0:1], v[54:55], -v[0:1]
	v_add_f64_e64 v[10:11], v[2:3], -v[10:11]
	s_delay_alu instid0(VALU_DEP_4) | instskip(NEXT) | instid1(VALU_DEP_4)
	v_add_f64_e64 v[6:7], v[4:5], -v[6:7]
	v_add_f64_e64 v[8:9], v[52:53], -v[8:9]
	s_delay_alu instid0(VALU_DEP_4) | instskip(NEXT) | instid1(VALU_DEP_4)
	v_fma_f64 v[12:13], v[54:55], 2.0, -v[0:1]
	v_add_f64_e64 v[42:43], v[0:1], -v[10:11]
	v_fma_f64 v[2:3], v[2:3], 2.0, -v[10:11]
	v_fma_f64 v[4:5], v[4:5], 2.0, -v[6:7]
	;; [unrolled: 1-line block ×3, first 2 shown]
	v_add_f64_e32 v[40:41], v[8:9], v[6:7]
	v_fma_f64 v[50:51], v[0:1], 2.0, -v[42:43]
	scratch_load_b32 v1, off, off offset:252 th:TH_LOAD_LU ; 4-byte Folded Reload
	v_add_f64_e64 v[46:47], v[12:13], -v[4:5]
	v_add_f64_e64 v[44:45], v[14:15], -v[2:3]
	v_fma_f64 v[48:49], v[8:9], 2.0, -v[40:41]
	v_and_b32_e32 v0, 3, v188
	s_delay_alu instid0(VALU_DEP_4) | instskip(NEXT) | instid1(VALU_DEP_4)
	v_fma_f64 v[54:55], v[12:13], 2.0, -v[46:47]
	v_fma_f64 v[52:53], v[14:15], 2.0, -v[44:45]
	s_wait_loadcnt 0x0
	s_delay_alu instid0(VALU_DEP_3) | instskip(NEXT) | instid1(VALU_DEP_1)
	v_and_or_b32 v0, 0xff0, v1, v0
	v_lshlrev_b32_e32 v0, 4, v0
	ds_store_b128 v0, v[52:55]
	ds_store_b128 v0, v[48:51] offset:64
	ds_store_b128 v0, v[44:47] offset:128
	;; [unrolled: 1-line block ×3, first 2 shown]
.LBB0_29:
	s_wait_alu 0xfffe
	s_or_b32 exec_lo, exec_lo, s1
	global_wb scope:SCOPE_SE
	s_wait_dscnt 0x0
	s_barrier_signal -1
	s_barrier_wait -1
	global_inv scope:SCOPE_SE
	ds_load_b128 v[40:43], v187 offset:2816
	ds_load_b128 v[52:55], v187
	scratch_load_b128 v[12:15], off, off offset:232 th:TH_LOAD_LU ; 16-byte Folded Reload
	ds_load_b128 v[44:47], v187 offset:28160
	ds_load_b128 v[48:51], v187 offset:5632
	ds_load_b128 v[104:107], v187 offset:25344
	scratch_load_b128 v[56:59], off, off offset:212 th:TH_LOAD_LU ; 16-byte Folded Reload
	ds_load_b128 v[140:143], v187 offset:8448
	ds_load_b128 v[144:147], v187 offset:22528
	ds_load_b128 v[148:151], v187 offset:19712
	;; [unrolled: 4-line block ×3, first 2 shown]
	s_mov_b32 s0, 0xf8bb580b
	s_mov_b32 s12, 0x8eee2c13
	;; [unrolled: 1-line block ×13, first 2 shown]
	s_wait_dscnt 0x5
	v_mul_f64_e32 v[18:19], v[86:87], v[142:143]
	s_wait_dscnt 0x4
	v_mul_f64_e32 v[24:25], v[94:95], v[146:147]
	;; [unrolled: 2-line block ×3, first 2 shown]
	v_mul_f64_e32 v[30:31], v[90:91], v[148:149]
	s_wait_dscnt 0x2
	v_mul_f64_e32 v[26:27], v[82:83], v[152:153]
	s_wait_dscnt 0x1
	v_mul_f64_e32 v[32:33], v[102:103], v[158:159]
	v_mul_f64_e32 v[34:35], v[102:103], v[156:157]
	;; [unrolled: 1-line block ×3, first 2 shown]
	s_wait_dscnt 0x0
	v_mul_f64_e32 v[36:37], v[98:99], v[60:61]
	s_mov_b32 s27, 0xbfe4f49e
	s_mov_b32 s30, 0xfd768dbf
	;; [unrolled: 1-line block ×6, first 2 shown]
	s_wait_alu 0xfffe
	s_mov_b32 s16, s12
	s_mov_b32 s11, 0x3fe14ced
	;; [unrolled: 1-line block ×9, first 2 shown]
	s_wait_loadcnt 0x2
	v_mul_f64_e32 v[0:1], v[14:15], v[42:43]
	v_mul_f64_e32 v[2:3], v[14:15], v[40:41]
	s_wait_loadcnt 0x1
	v_mul_f64_e32 v[4:5], v[58:59], v[44:45]
	v_mul_f64_e32 v[14:15], v[94:95], v[144:145]
	;; [unrolled: 3-line block ×3, first 2 shown]
	scratch_load_b128 v[66:69], off, off offset:284 th:TH_LOAD_LU ; 16-byte Folded Reload
	v_mul_f64_e32 v[16:17], v[58:59], v[46:47]
	global_wb scope:SCOPE_SE
	s_wait_loadcnt 0x0
	s_barrier_signal -1
	s_barrier_wait -1
	global_inv scope:SCOPE_SE
	v_fma_f64 v[0:1], v[12:13], v[40:41], v[0:1]
	v_fma_f64 v[2:3], v[12:13], v[42:43], -v[2:3]
	v_mul_f64_e32 v[12:13], v[86:87], v[140:141]
	v_fma_f64 v[40:41], v[56:57], v[46:47], -v[4:5]
	v_fma_f64 v[6:7], v[64:65], v[48:49], v[6:7]
	v_fma_f64 v[8:9], v[64:65], v[50:51], -v[8:9]
	v_fma_f64 v[48:49], v[92:93], v[146:147], -v[14:15]
	v_fma_f64 v[14:15], v[84:85], v[140:141], v[18:19]
	v_fma_f64 v[50:51], v[92:93], v[144:145], v[24:25]
	v_fma_f64 v[18:19], v[80:81], v[154:155], -v[26:27]
	v_fma_f64 v[24:25], v[100:101], v[156:157], v[32:33]
	v_fma_f64 v[26:27], v[100:101], v[158:159], -v[34:35]
	v_fma_f64 v[44:45], v[56:57], v[44:45], v[16:17]
	v_fma_f64 v[16:17], v[80:81], v[152:153], v[22:23]
	v_mul_f64_e32 v[4:5], v[98:99], v[62:63]
	v_fma_f64 v[22:23], v[88:89], v[150:151], -v[30:31]
	v_fma_f64 v[30:31], v[96:97], v[62:63], -v[36:37]
	v_add_f64_e32 v[38:39], v[54:55], v[2:3]
	v_fma_f64 v[12:13], v[84:85], v[142:143], -v[12:13]
	v_add_f64_e64 v[62:63], v[14:15], -v[50:51]
	v_add_f64_e32 v[56:57], v[0:1], v[44:45]
	v_fma_f64 v[4:5], v[96:97], v[60:61], v[4:5]
	v_add_f64_e32 v[60:61], v[14:15], v[50:51]
	v_add_f64_e32 v[78:79], v[26:27], v[30:31]
	v_add_f64_e64 v[86:87], v[26:27], -v[30:31]
	v_add_f64_e64 v[36:37], v[12:13], -v[48:49]
	v_add_f64_e32 v[76:77], v[24:25], v[4:5]
	v_add_f64_e64 v[84:85], v[24:25], -v[4:5]
	s_delay_alu instid0(VALU_DEP_3) | instskip(SKIP_3) | instid1(VALU_DEP_2)
	v_mul_f64_e32 v[140:141], s[18:19], v[36:37]
	s_wait_alu 0xfffe
	v_mul_f64_e32 v[144:145], s[36:37], v[36:37]
	v_mul_f64_e32 v[152:153], s[0:1], v[36:37]
	v_fma_f64 v[195:196], v[60:61], s[34:35], v[144:145]
	v_fma_f64 v[144:145], v[60:61], s[34:35], -v[144:145]
	s_delay_alu instid0(VALU_DEP_3) | instskip(SKIP_3) | instid1(VALU_DEP_3)
	v_fma_f64 v[199:200], v[60:61], s[2:3], v[152:153]
	v_mul_f64_e32 v[10:11], v[68:69], v[104:105]
	v_mul_f64_e32 v[20:21], v[68:69], v[106:107]
	v_add_f64_e64 v[68:69], v[18:19], -v[22:23]
	v_fma_f64 v[42:43], v[66:67], v[106:107], -v[10:11]
	v_add_f64_e32 v[10:11], v[52:53], v[0:1]
	s_delay_alu instid0(VALU_DEP_4)
	v_fma_f64 v[46:47], v[66:67], v[104:105], v[20:21]
	v_fma_f64 v[20:21], v[88:89], v[148:149], v[28:29]
	v_add_f64_e64 v[28:29], v[2:3], -v[40:41]
	v_add_f64_e32 v[2:3], v[2:3], v[40:41]
	v_add_f64_e64 v[0:1], v[0:1], -v[44:45]
	v_add_f64_e32 v[66:67], v[18:19], v[22:23]
	v_mul_f64_e32 v[148:149], s[16:17], v[36:37]
	v_mul_f64_e32 v[36:37], s[24:25], v[36:37]
	;; [unrolled: 1-line block ×3, first 2 shown]
	v_add_f64_e64 v[32:33], v[8:9], -v[42:43]
	v_add_f64_e32 v[10:11], v[10:11], v[6:7]
	v_add_f64_e32 v[34:35], v[8:9], v[42:43]
	;; [unrolled: 1-line block ×3, first 2 shown]
	v_mul_f64_e32 v[72:73], s[0:1], v[28:29]
	v_mul_f64_e32 v[80:81], s[12:13], v[28:29]
	;; [unrolled: 1-line block ×10, first 2 shown]
	v_add_f64_e32 v[38:39], v[12:13], v[48:49]
	v_add_f64_e32 v[58:59], v[6:7], v[46:47]
	v_add_f64_e64 v[6:7], v[6:7], -v[46:47]
	v_add_f64_e32 v[64:65], v[16:17], v[20:21]
	v_add_f64_e64 v[70:71], v[16:17], -v[20:21]
	v_mul_f64_e32 v[158:159], s[26:27], v[66:67]
	v_mul_f64_e32 v[96:97], s[12:13], v[32:33]
	v_add_f64_e32 v[10:11], v[10:11], v[14:15]
	v_mul_f64_e32 v[98:99], s[26:27], v[34:35]
	v_add_f64_e32 v[8:9], v[8:9], v[12:13]
	v_mul_f64_e32 v[12:13], s[24:25], v[32:33]
	v_fma_f64 v[160:161], v[56:57], s[2:3], v[72:73]
	v_fma_f64 v[72:73], v[56:57], s[2:3], -v[72:73]
	v_fma_f64 v[164:165], v[56:57], s[14:15], v[80:81]
	v_fma_f64 v[166:167], v[0:1], s[16:17], v[82:83]
	v_mul_f64_e32 v[14:15], s[14:15], v[34:35]
	v_mul_f64_e32 v[100:101], s[36:37], v[32:33]
	;; [unrolled: 1-line block ×3, first 2 shown]
	v_fma_f64 v[162:163], v[0:1], s[10:11], v[74:75]
	v_fma_f64 v[74:75], v[0:1], s[0:1], v[74:75]
	;; [unrolled: 1-line block ×4, first 2 shown]
	v_mul_f64_e32 v[104:105], s[22:23], v[32:33]
	v_mul_f64_e32 v[106:107], s[20:21], v[34:35]
	v_fma_f64 v[172:173], v[56:57], s[26:27], v[92:93]
	v_fma_f64 v[174:175], v[0:1], s[28:29], v[94:95]
	v_mul_f64_e32 v[32:33], s[10:11], v[32:33]
	v_mul_f64_e32 v[34:35], s[2:3], v[34:35]
	v_fma_f64 v[82:83], v[0:1], s[12:13], v[82:83]
	v_fma_f64 v[90:91], v[0:1], s[18:19], v[90:91]
	v_fma_f64 v[80:81], v[56:57], s[14:15], -v[80:81]
	v_fma_f64 v[92:93], v[56:57], s[26:27], -v[92:93]
	;; [unrolled: 1-line block ×3, first 2 shown]
	v_mul_f64_e32 v[142:143], s[20:21], v[38:39]
	v_mul_f64_e32 v[146:147], s[34:35], v[38:39]
	;; [unrolled: 1-line block ×5, first 2 shown]
	v_add_f64_e32 v[10:11], v[10:11], v[16:17]
	v_fma_f64 v[16:17], v[0:1], s[24:25], v[94:95]
	v_add_f64_e32 v[8:9], v[8:9], v[18:19]
	v_fma_f64 v[18:19], v[56:57], s[34:35], v[28:29]
	v_fma_f64 v[94:95], v[0:1], s[36:37], v[2:3]
	v_fma_f64 v[28:29], v[56:57], s[34:35], -v[28:29]
	v_fma_f64 v[0:1], v[0:1], s[30:31], v[2:3]
	v_fma_f64 v[2:3], v[58:59], s[14:15], v[96:97]
	v_fma_f64 v[96:97], v[58:59], s[14:15], -v[96:97]
	v_fma_f64 v[176:177], v[58:59], s[26:27], v[12:13]
	v_fma_f64 v[178:179], v[6:7], s[28:29], v[98:99]
	v_add_f64_e32 v[160:161], v[52:53], v[160:161]
	v_add_f64_e32 v[72:73], v[52:53], v[72:73]
	;; [unrolled: 1-line block ×4, first 2 shown]
	v_fma_f64 v[56:57], v[6:7], s[16:17], v[14:15]
	v_fma_f64 v[14:15], v[6:7], s[12:13], v[14:15]
	;; [unrolled: 1-line block ×4, first 2 shown]
	v_add_f64_e32 v[74:75], v[54:55], v[74:75]
	v_add_f64_e32 v[168:169], v[52:53], v[168:169]
	;; [unrolled: 1-line block ×3, first 2 shown]
	v_fma_f64 v[184:185], v[58:59], s[20:21], v[104:105]
	v_fma_f64 v[189:190], v[6:7], s[18:19], v[106:107]
	v_add_f64_e32 v[172:173], v[52:53], v[172:173]
	v_add_f64_e32 v[174:175], v[54:55], v[174:175]
	v_fma_f64 v[191:192], v[58:59], s[2:3], v[32:33]
	v_fma_f64 v[193:194], v[6:7], s[0:1], v[34:35]
	;; [unrolled: 1-line block ×5, first 2 shown]
	v_fma_f64 v[32:33], v[58:59], s[2:3], -v[32:33]
	v_fma_f64 v[6:7], v[6:7], s[10:11], v[34:35]
	v_fma_f64 v[12:13], v[58:59], s[26:27], -v[12:13]
	v_fma_f64 v[104:105], v[58:59], s[20:21], -v[104:105]
	v_add_f64_e32 v[80:81], v[52:53], v[80:81]
	v_add_f64_e32 v[92:93], v[52:53], v[92:93]
	v_fma_f64 v[100:101], v[58:59], s[34:35], -v[100:101]
	v_add_f64_e32 v[10:11], v[10:11], v[24:25]
	v_add_f64_e32 v[16:17], v[54:55], v[16:17]
	;; [unrolled: 1-line block ×11, first 2 shown]
	v_fma_f64 v[34:35], v[60:61], s[20:21], v[140:141]
	v_fma_f64 v[58:59], v[62:63], s[22:23], v[142:143]
	v_fma_f64 v[140:141], v[60:61], s[20:21], -v[140:141]
	v_fma_f64 v[142:143], v[62:63], s[18:19], v[142:143]
	v_fma_f64 v[197:198], v[62:63], s[30:31], v[146:147]
	;; [unrolled: 1-line block ×5, first 2 shown]
	v_fma_f64 v[148:149], v[60:61], s[14:15], -v[148:149]
	v_fma_f64 v[150:151], v[62:63], s[16:17], v[150:151]
	v_fma_f64 v[52:53], v[62:63], s[10:11], v[154:155]
	v_fma_f64 v[54:55], v[60:61], s[2:3], -v[152:153]
	v_fma_f64 v[152:153], v[62:63], s[0:1], v[154:155]
	v_fma_f64 v[154:155], v[60:61], s[26:27], v[36:37]
	;; [unrolled: 3-line block ×3, first 2 shown]
	v_mul_f64_e32 v[62:63], s[22:23], v[68:69]
	v_add_f64_e32 v[2:3], v[2:3], v[160:161]
	v_mul_f64_e32 v[160:161], s[20:21], v[66:67]
	v_add_f64_e32 v[72:73], v[96:97], v[72:73]
	v_add_f64_e32 v[164:165], v[176:177], v[164:165]
	;; [unrolled: 1-line block ×3, first 2 shown]
	v_mul_f64_e32 v[96:97], s[0:1], v[68:69]
	v_add_f64_e32 v[14:15], v[14:15], v[74:75]
	v_mul_f64_e32 v[74:75], s[2:3], v[66:67]
	v_add_f64_e32 v[168:169], v[180:181], v[168:169]
	v_add_f64_e32 v[4:5], v[10:11], v[4:5]
	;; [unrolled: 1-line block ×4, first 2 shown]
	v_mul_f64_e32 v[10:11], s[30:31], v[68:69]
	v_mul_f64_e32 v[30:31], s[34:35], v[66:67]
	v_add_f64_e32 v[172:173], v[184:185], v[172:173]
	v_add_f64_e32 v[174:175], v[189:190], v[174:175]
	v_mul_f64_e32 v[68:69], s[16:17], v[68:69]
	v_mul_f64_e32 v[66:67], s[14:15], v[66:67]
	v_add_f64_e32 v[18:19], v[191:192], v[18:19]
	v_add_f64_e32 v[94:95], v[193:194], v[94:95]
	;; [unrolled: 1-line block ×10, first 2 shown]
	v_mul_f64_e32 v[80:81], s[10:11], v[86:87]
	v_mul_f64_e32 v[180:181], s[2:3], v[78:79]
	;; [unrolled: 1-line block ×7, first 2 shown]
	v_fma_f64 v[104:105], v[64:65], s[26:27], v[156:157]
	v_mul_f64_e32 v[178:179], s[34:35], v[78:79]
	v_fma_f64 v[193:194], v[64:65], s[20:21], v[62:63]
	v_add_f64_e32 v[2:3], v[34:35], v[2:3]
	v_fma_f64 v[32:33], v[70:71], s[18:19], v[160:161]
	v_add_f64_e32 v[34:35], v[140:141], v[72:73]
	v_add_f64_e32 v[72:73], v[195:196], v[164:165]
	;; [unrolled: 1-line block ×3, first 2 shown]
	v_fma_f64 v[90:91], v[64:65], s[2:3], -v[96:97]
	v_add_f64_e32 v[14:15], v[142:143], v[14:15]
	v_mul_f64_e32 v[86:87], s[18:19], v[86:87]
	v_add_f64_e32 v[24:25], v[24:25], v[168:169]
	v_add_f64_e32 v[4:5], v[4:5], v[20:21]
	;; [unrolled: 1-line block ×4, first 2 shown]
	v_fma_f64 v[22:23], v[64:65], s[2:3], v[96:97]
	v_fma_f64 v[56:57], v[70:71], s[10:11], v[74:75]
	v_add_f64_e32 v[26:27], v[26:27], v[170:171]
	v_fma_f64 v[96:97], v[64:65], s[34:35], v[10:11]
	v_fma_f64 v[98:99], v[70:71], s[36:37], v[30:31]
	v_add_f64_e32 v[142:143], v[199:200], v[172:173]
	v_add_f64_e32 v[52:53], v[52:53], v[174:175]
	v_mul_f64_e32 v[78:79], s[20:21], v[78:79]
	v_fma_f64 v[102:103], v[64:65], s[14:15], v[68:69]
	v_fma_f64 v[106:107], v[70:71], s[12:13], v[66:67]
	v_add_f64_e32 v[18:19], v[154:155], v[18:19]
	v_add_f64_e32 v[60:61], v[60:61], v[94:95]
	v_fma_f64 v[156:157], v[64:65], s[26:27], -v[156:157]
	v_fma_f64 v[62:63], v[64:65], s[20:21], -v[62:63]
	;; [unrolled: 1-line block ×4, first 2 shown]
	v_fma_f64 v[66:67], v[70:71], s[16:17], v[66:67]
	v_add_f64_e32 v[28:29], v[36:37], v[28:29]
	v_add_f64_e32 v[0:1], v[38:39], v[0:1]
	v_fma_f64 v[30:31], v[70:71], s[30:31], v[30:31]
	v_add_f64_e32 v[12:13], v[144:145], v[12:13]
	v_add_f64_e32 v[54:55], v[54:55], v[92:93]
	;; [unrolled: 1-line block ×3, first 2 shown]
	v_fma_f64 v[74:75], v[70:71], s[0:1], v[74:75]
	v_add_f64_e32 v[88:89], v[148:149], v[88:89]
	v_add_f64_e32 v[16:17], v[150:151], v[16:17]
	v_fma_f64 v[160:161], v[70:71], s[22:23], v[160:161]
	v_add_f64_e32 v[36:37], v[146:147], v[82:83]
	v_fma_f64 v[191:192], v[70:71], s[28:29], v[158:159]
	v_fma_f64 v[158:159], v[70:71], s[24:25], v[158:159]
	;; [unrolled: 1-line block ×3, first 2 shown]
	v_add_f64_e32 v[32:33], v[32:33], v[140:141]
	v_fma_f64 v[82:83], v[76:77], s[26:27], v[182:183]
	v_fma_f64 v[94:95], v[84:85], s[28:29], v[100:101]
	;; [unrolled: 1-line block ×3, first 2 shown]
	v_add_f64_e32 v[4:5], v[4:5], v[50:51]
	v_add_f64_e32 v[20:21], v[58:59], v[20:21]
	;; [unrolled: 1-line block ×3, first 2 shown]
	v_fma_f64 v[58:59], v[84:85], s[0:1], v[180:181]
	v_add_f64_e32 v[50:51], v[193:194], v[72:73]
	v_add_f64_e32 v[22:23], v[22:23], v[24:25]
	;; [unrolled: 1-line block ×3, first 2 shown]
	v_fma_f64 v[146:147], v[76:77], s[14:15], v[184:185]
	v_fma_f64 v[148:149], v[84:85], s[12:13], v[189:190]
	v_add_f64_e32 v[2:3], v[104:105], v[2:3]
	v_add_f64_e32 v[56:57], v[96:97], v[142:143]
	;; [unrolled: 1-line block ×3, first 2 shown]
	v_fma_f64 v[162:163], v[76:77], s[34:35], -v[176:177]
	v_fma_f64 v[80:81], v[76:77], s[2:3], -v[80:81]
	;; [unrolled: 1-line block ×4, first 2 shown]
	v_fma_f64 v[154:155], v[76:77], s[20:21], v[86:87]
	v_fma_f64 v[164:165], v[84:85], s[22:23], v[78:79]
	v_fma_f64 v[76:77], v[76:77], s[20:21], -v[86:87]
	v_add_f64_e32 v[18:19], v[102:103], v[18:19]
	v_add_f64_e32 v[86:87], v[106:107], v[60:61]
	v_fma_f64 v[78:79], v[84:85], s[18:19], v[78:79]
	v_add_f64_e32 v[28:29], v[64:65], v[28:29]
	v_add_f64_e32 v[0:1], v[66:67], v[0:1]
	v_fma_f64 v[152:153], v[84:85], s[16:17], v[189:190]
	v_add_f64_e32 v[12:13], v[62:63], v[12:13]
	v_add_f64_e32 v[10:11], v[10:11], v[54:55]
	;; [unrolled: 1-line block ×3, first 2 shown]
	v_fma_f64 v[100:101], v[84:85], s[24:25], v[100:101]
	v_add_f64_e32 v[26:27], v[90:91], v[88:89]
	v_add_f64_e32 v[16:17], v[74:75], v[16:17]
	v_fma_f64 v[92:93], v[84:85], s[10:11], v[180:181]
	v_add_f64_e32 v[30:31], v[160:161], v[36:37]
	v_fma_f64 v[176:177], v[84:85], s[30:31], v[178:179]
	v_add_f64_e32 v[34:35], v[156:157], v[34:35]
	v_add_f64_e32 v[14:15], v[158:159], v[14:15]
	v_fma_f64 v[70:71], v[84:85], s[36:37], v[178:179]
	v_add_f64_e32 v[4:5], v[4:5], v[46:47]
	v_add_f64_e32 v[20:21], v[191:192], v[20:21]
	;; [unrolled: 1-line block ×25, first 2 shown]
	ds_store_b128 v206, v[50:53] offset:512
	ds_store_b128 v206, v[58:61] offset:768
	;; [unrolled: 1-line block ×9, first 2 shown]
	ds_store_b128 v206, v[92:95]
	ds_store_b128 v206, v[42:45] offset:256
	global_wb scope:SCOPE_SE
	s_wait_dscnt 0x0
	s_barrier_signal -1
	s_barrier_wait -1
	global_inv scope:SCOPE_SE
	ds_load_b128 v[40:43], v187 offset:2816
	ds_load_b128 v[52:55], v187
	scratch_load_b128 v[12:15], off, off offset:304 th:TH_LOAD_LU ; 16-byte Folded Reload
	ds_load_b128 v[46:49], v187 offset:28160
	ds_load_b128 v[56:59], v187 offset:5632
	;; [unrolled: 1-line block ×8, first 2 shown]
	scratch_load_b128 v[72:75], off, off offset:320 th:TH_LOAD_LU ; 16-byte Folded Reload
	ds_load_b128 v[92:95], v187 offset:14080
	s_wait_dscnt 0x5
	v_mul_f64_e32 v[18:19], v[122:123], v[66:67]
	v_mul_f64_e32 v[4:5], v[114:115], v[46:47]
	;; [unrolled: 1-line block ×5, first 2 shown]
	s_wait_dscnt 0x3
	v_mul_f64_e32 v[26:27], v[118:119], v[80:81]
	s_wait_dscnt 0x1
	v_mul_f64_e32 v[28:29], v[126:127], v[90:91]
	;; [unrolled: 2-line block ×3, first 2 shown]
	v_mul_f64_e32 v[36:37], v[134:135], v[86:87]
	v_mul_f64_e32 v[22:23], v[118:119], v[82:83]
	;; [unrolled: 1-line block ×6, first 2 shown]
	v_fma_f64 v[44:45], v[108:109], v[62:63], -v[8:9]
	v_fma_f64 v[50:51], v[128:129], v[68:69], v[24:25]
	s_delay_alu instid0(VALU_DEP_4)
	v_fma_f64 v[24:25], v[136:137], v[92:93], v[32:33]
	s_wait_loadcnt 0x1
	v_mul_f64_e32 v[0:1], v[14:15], v[42:43]
	v_mul_f64_e32 v[2:3], v[14:15], v[40:41]
	;; [unrolled: 1-line block ×3, first 2 shown]
	s_wait_loadcnt 0x0
	v_mul_f64_e32 v[6:7], v[74:75], v[56:57]
	v_mul_f64_e32 v[10:11], v[74:75], v[58:59]
	v_fma_f64 v[0:1], v[12:13], v[40:41], v[0:1]
	v_fma_f64 v[2:3], v[12:13], v[42:43], -v[2:3]
	v_mul_f64_e32 v[12:13], v[122:123], v[64:65]
	v_fma_f64 v[40:41], v[112:113], v[48:49], -v[4:5]
	v_fma_f64 v[4:5], v[72:73], v[58:59], -v[6:7]
	v_fma_f64 v[6:7], v[72:73], v[56:57], v[10:11]
	v_fma_f64 v[48:49], v[128:129], v[70:71], -v[14:15]
	v_fma_f64 v[42:43], v[112:113], v[46:47], v[16:17]
	v_fma_f64 v[14:15], v[120:121], v[64:65], v[18:19]
	;; [unrolled: 1-line block ×3, first 2 shown]
	v_fma_f64 v[18:19], v[116:117], v[82:83], -v[26:27]
	v_fma_f64 v[20:21], v[124:125], v[88:89], v[28:29]
	v_fma_f64 v[26:27], v[136:137], v[94:95], -v[34:35]
	v_fma_f64 v[28:29], v[132:133], v[84:85], v[36:37]
	v_fma_f64 v[16:17], v[116:117], v[80:81], v[22:23]
	v_fma_f64 v[22:23], v[124:125], v[90:91], -v[30:31]
	v_fma_f64 v[30:31], v[132:133], v[86:87], -v[38:39]
	v_add_f64_e32 v[8:9], v[52:53], v[0:1]
	v_add_f64_e32 v[10:11], v[54:55], v[2:3]
	v_fma_f64 v[12:13], v[120:121], v[66:67], -v[12:13]
	v_add_f64_e64 v[32:33], v[2:3], -v[40:41]
	v_add_f64_e64 v[34:35], v[4:5], -v[44:45]
	v_add_f64_e32 v[36:37], v[4:5], v[44:45]
	v_add_f64_e32 v[2:3], v[2:3], v[40:41]
	;; [unrolled: 1-line block ×3, first 2 shown]
	v_add_f64_e64 v[0:1], v[0:1], -v[42:43]
	v_add_f64_e32 v[58:59], v[6:7], v[46:47]
	v_add_f64_e32 v[60:61], v[14:15], v[50:51]
	v_add_f64_e64 v[62:63], v[14:15], -v[50:51]
	v_add_f64_e32 v[72:73], v[24:25], v[28:29]
	v_add_f64_e32 v[64:65], v[16:17], v[20:21]
	;; [unrolled: 1-line block ×4, first 2 shown]
	v_add_f64_e64 v[68:69], v[18:19], -v[22:23]
	v_add_f64_e64 v[70:71], v[16:17], -v[20:21]
	;; [unrolled: 1-line block ×4, first 2 shown]
	v_add_f64_e32 v[8:9], v[8:9], v[6:7]
	v_add_f64_e32 v[4:5], v[10:11], v[4:5]
	v_add_f64_e64 v[10:11], v[12:13], -v[48:49]
	v_mul_f64_e32 v[80:81], s[0:1], v[32:33]
	v_mul_f64_e32 v[84:85], s[12:13], v[32:33]
	;; [unrolled: 1-line block ×10, first 2 shown]
	v_add_f64_e32 v[38:39], v[12:13], v[48:49]
	v_add_f64_e64 v[6:7], v[6:7], -v[46:47]
	v_mul_f64_e32 v[96:97], s[12:13], v[34:35]
	v_mul_f64_e32 v[98:99], s[14:15], v[36:37]
	;; [unrolled: 1-line block ×23, first 2 shown]
	v_add_f64_e32 v[8:9], v[8:9], v[14:15]
	v_add_f64_e32 v[4:5], v[4:5], v[12:13]
	v_mul_f64_e32 v[12:13], s[26:27], v[36:37]
	v_mul_f64_e32 v[14:15], s[36:37], v[34:35]
	v_fma_f64 v[156:157], v[56:57], s[14:15], v[84:85]
	v_fma_f64 v[84:85], v[56:57], s[14:15], -v[84:85]
	v_fma_f64 v[160:161], v[56:57], s[20:21], v[88:89]
	v_fma_f64 v[158:159], v[0:1], s[16:17], v[86:87]
	;; [unrolled: 1-line block ×3, first 2 shown]
	v_fma_f64 v[88:89], v[56:57], s[20:21], -v[88:89]
	v_fma_f64 v[164:165], v[56:57], s[26:27], v[92:93]
	v_fma_f64 v[166:167], v[0:1], s[28:29], v[94:95]
	v_mul_f64_e32 v[34:35], s[10:11], v[34:35]
	v_mul_f64_e32 v[36:37], s[2:3], v[36:37]
	v_fma_f64 v[92:93], v[56:57], s[26:27], -v[92:93]
	v_fma_f64 v[168:169], v[56:57], s[34:35], v[32:33]
	v_fma_f64 v[170:171], v[0:1], s[36:37], v[2:3]
	;; [unrolled: 1-line block ×5, first 2 shown]
	v_fma_f64 v[32:33], v[56:57], s[34:35], -v[32:33]
	v_mul_f64_e32 v[108:109], s[18:19], v[10:11]
	v_mul_f64_e32 v[110:111], s[20:21], v[38:39]
	;; [unrolled: 1-line block ×4, first 2 shown]
	v_fma_f64 v[172:173], v[58:59], s[26:27], v[100:101]
	v_mul_f64_e32 v[116:117], s[16:17], v[10:11]
	v_mul_f64_e32 v[118:119], s[14:15], v[38:39]
	v_fma_f64 v[100:101], v[58:59], s[26:27], -v[100:101]
	v_fma_f64 v[178:179], v[6:7], s[30:31], v[102:103]
	v_mul_f64_e32 v[120:121], s[0:1], v[10:11]
	v_mul_f64_e32 v[122:123], s[2:3], v[38:39]
	v_fma_f64 v[180:181], v[58:59], s[20:21], v[104:105]
	v_fma_f64 v[182:183], v[6:7], s[18:19], v[106:107]
	v_mul_f64_e32 v[10:11], s[24:25], v[10:11]
	v_mul_f64_e32 v[38:39], s[26:27], v[38:39]
	v_fma_f64 v[104:105], v[58:59], s[20:21], -v[104:105]
	v_fma_f64 v[102:103], v[6:7], s[36:37], v[102:103]
	v_add_f64_e32 v[8:9], v[8:9], v[16:17]
	v_add_f64_e32 v[4:5], v[4:5], v[18:19]
	v_mul_f64_e32 v[16:17], s[20:21], v[74:75]
	v_fma_f64 v[18:19], v[56:57], s[2:3], v[80:81]
	v_fma_f64 v[74:75], v[0:1], s[10:11], v[82:83]
	v_fma_f64 v[80:81], v[56:57], s[2:3], -v[80:81]
	v_fma_f64 v[82:83], v[0:1], s[0:1], v[82:83]
	v_fma_f64 v[0:1], v[0:1], s[30:31], v[2:3]
	;; [unrolled: 1-line block ×4, first 2 shown]
	v_fma_f64 v[96:97], v[58:59], s[14:15], -v[96:97]
	v_fma_f64 v[98:99], v[6:7], s[12:13], v[98:99]
	v_fma_f64 v[174:175], v[6:7], s[28:29], v[12:13]
	v_add_f64_e32 v[156:157], v[52:53], v[156:157]
	v_add_f64_e32 v[158:159], v[54:55], v[158:159]
	v_fma_f64 v[176:177], v[58:59], s[34:35], v[14:15]
	v_add_f64_e32 v[84:85], v[52:53], v[84:85]
	v_add_f64_e32 v[160:161], v[52:53], v[160:161]
	;; [unrolled: 1-line block ×3, first 2 shown]
	v_fma_f64 v[14:15], v[58:59], s[34:35], -v[14:15]
	v_add_f64_e32 v[88:89], v[52:53], v[88:89]
	v_add_f64_e32 v[164:165], v[52:53], v[164:165]
	;; [unrolled: 1-line block ×6, first 2 shown]
	v_fma_f64 v[12:13], v[6:7], s[24:25], v[12:13]
	v_add_f64_e32 v[32:33], v[52:53], v[32:33]
	v_add_f64_e32 v[90:91], v[54:55], v[90:91]
	;; [unrolled: 1-line block ×3, first 2 shown]
	v_fma_f64 v[184:185], v[60:61], s[34:35], v[112:113]
	v_fma_f64 v[189:190], v[62:63], s[30:31], v[114:115]
	;; [unrolled: 1-line block ×4, first 2 shown]
	v_fma_f64 v[116:117], v[60:61], s[14:15], -v[116:117]
	v_fma_f64 v[112:113], v[60:61], s[34:35], -v[112:113]
	v_fma_f64 v[118:119], v[62:63], s[16:17], v[118:119]
	v_fma_f64 v[114:115], v[62:63], s[36:37], v[114:115]
	v_add_f64_e32 v[8:9], v[8:9], v[24:25]
	v_add_f64_e32 v[4:5], v[4:5], v[26:27]
	v_fma_f64 v[24:25], v[6:7], s[22:23], v[106:107]
	v_add_f64_e32 v[18:19], v[52:53], v[18:19]
	v_fma_f64 v[26:27], v[58:59], s[2:3], v[34:35]
	v_add_f64_e32 v[80:81], v[52:53], v[80:81]
	v_add_f64_e32 v[82:83], v[54:55], v[82:83]
	v_fma_f64 v[106:107], v[6:7], s[0:1], v[36:37]
	v_fma_f64 v[34:35], v[58:59], s[2:3], -v[34:35]
	v_fma_f64 v[6:7], v[6:7], s[10:11], v[36:37]
	v_add_f64_e32 v[0:1], v[54:55], v[0:1]
	v_add_f64_e32 v[52:53], v[54:55], v[94:95]
	v_fma_f64 v[36:37], v[60:61], s[20:21], v[108:109]
	v_fma_f64 v[58:59], v[62:63], s[22:23], v[110:111]
	;; [unrolled: 1-line block ×3, first 2 shown]
	v_fma_f64 v[108:109], v[60:61], s[20:21], -v[108:109]
	v_add_f64_e32 v[84:85], v[100:101], v[84:85]
	v_fma_f64 v[94:95], v[62:63], s[0:1], v[122:123]
	v_add_f64_e32 v[100:101], v[178:179], v[162:163]
	v_mul_f64_e32 v[152:153], s[16:17], v[78:79]
	v_add_f64_e32 v[14:15], v[14:15], v[88:89]
	v_add_f64_e32 v[88:89], v[180:181], v[164:165]
	v_mul_f64_e32 v[78:79], s[18:19], v[78:79]
	v_add_f64_e32 v[92:93], v[104:105], v[92:93]
	v_fma_f64 v[195:196], v[64:65], s[20:21], v[128:129]
	v_fma_f64 v[197:198], v[70:71], s[18:19], v[130:131]
	v_fma_f64 v[128:129], v[64:65], s[20:21], -v[128:129]
	v_fma_f64 v[130:131], v[70:71], s[22:23], v[130:131]
	v_add_f64_e32 v[12:13], v[12:13], v[86:87]
	v_fma_f64 v[86:87], v[70:71], s[36:37], v[138:139]
	v_add_f64_e32 v[8:9], v[8:9], v[28:29]
	v_add_f64_e32 v[4:5], v[4:5], v[30:31]
	;; [unrolled: 1-line block ×4, first 2 shown]
	v_fma_f64 v[30:31], v[60:61], s[2:3], v[120:121]
	v_add_f64_e32 v[18:19], v[96:97], v[80:81]
	v_add_f64_e32 v[80:81], v[98:99], v[82:83]
	;; [unrolled: 1-line block ×5, first 2 shown]
	v_fma_f64 v[54:55], v[62:63], s[10:11], v[122:123]
	v_add_f64_e32 v[156:157], v[182:183], v[166:167]
	v_fma_f64 v[74:75], v[60:61], s[2:3], -v[120:121]
	v_fma_f64 v[120:121], v[60:61], s[26:27], v[10:11]
	v_fma_f64 v[122:123], v[62:63], s[28:29], v[38:39]
	v_add_f64_e32 v[26:27], v[26:27], v[168:169]
	v_add_f64_e32 v[104:105], v[106:107], v[170:171]
	v_fma_f64 v[10:11], v[60:61], s[26:27], -v[10:11]
	v_fma_f64 v[38:39], v[62:63], s[24:25], v[38:39]
	v_add_f64_e32 v[32:33], v[34:35], v[32:33]
	v_add_f64_e32 v[0:1], v[6:7], v[0:1]
	;; [unrolled: 1-line block ×4, first 2 shown]
	v_fma_f64 v[60:61], v[64:65], s[26:27], v[124:125]
	v_fma_f64 v[124:125], v[64:65], s[26:27], -v[124:125]
	v_fma_f64 v[34:35], v[64:65], s[2:3], -v[132:133]
	v_add_f64_e32 v[14:15], v[116:117], v[14:15]
	v_fma_f64 v[106:107], v[64:65], s[14:15], v[68:69]
	v_add_f64_e32 v[84:85], v[112:113], v[84:85]
	v_fma_f64 v[90:91], v[64:65], s[34:35], -v[136:137]
	v_fma_f64 v[102:103], v[70:71], s[30:31], v[138:139]
	v_fma_f64 v[52:53], v[70:71], s[0:1], v[134:135]
	v_add_f64_e32 v[12:13], v[114:115], v[12:13]
	v_fma_f64 v[62:63], v[70:71], s[28:29], v[126:127]
	v_fma_f64 v[126:127], v[70:71], s[24:25], v[126:127]
	v_fma_f64 v[114:115], v[72:73], s[14:15], -v[152:153]
	v_fma_f64 v[112:113], v[76:77], s[12:13], v[154:155]
	v_fma_f64 v[116:117], v[76:77], s[16:17], v[154:155]
	v_add_f64_e32 v[8:9], v[8:9], v[20:21]
	v_add_f64_e32 v[4:5], v[4:5], v[22:23]
	;; [unrolled: 1-line block ×4, first 2 shown]
	v_fma_f64 v[22:23], v[64:65], s[2:3], v[132:133]
	v_fma_f64 v[28:29], v[70:71], s[10:11], v[134:135]
	v_add_f64_e32 v[36:37], v[110:111], v[80:81]
	v_add_f64_e32 v[80:81], v[184:185], v[82:83]
	;; [unrolled: 1-line block ×5, first 2 shown]
	v_fma_f64 v[56:57], v[64:65], s[34:35], v[136:137]
	v_add_f64_e32 v[18:19], v[108:109], v[18:19]
	v_add_f64_e32 v[30:31], v[30:31], v[88:89]
	v_add_f64_e32 v[54:55], v[54:55], v[156:157]
	v_fma_f64 v[132:133], v[70:71], s[12:13], v[66:67]
	v_add_f64_e32 v[26:27], v[120:121], v[26:27]
	v_add_f64_e32 v[88:89], v[122:123], v[104:105]
	v_fma_f64 v[64:65], v[64:65], s[14:15], -v[68:69]
	v_fma_f64 v[66:67], v[70:71], s[16:17], v[66:67]
	v_add_f64_e32 v[10:11], v[10:11], v[32:33]
	v_add_f64_e32 v[0:1], v[38:39], v[0:1]
	;; [unrolled: 1-line block ×5, first 2 shown]
	v_fma_f64 v[68:69], v[72:73], s[34:35], v[140:141]
	v_fma_f64 v[70:71], v[72:73], s[34:35], -v[140:141]
	v_fma_f64 v[32:33], v[72:73], s[2:3], v[144:145]
	v_fma_f64 v[38:39], v[76:77], s[0:1], v[146:147]
	;; [unrolled: 1-line block ×3, first 2 shown]
	v_fma_f64 v[104:105], v[72:73], s[26:27], -v[148:149]
	v_fma_f64 v[110:111], v[72:73], s[14:15], v[152:153]
	v_fma_f64 v[118:119], v[72:73], s[20:21], v[78:79]
	v_fma_f64 v[122:123], v[72:73], s[20:21], -v[78:79]
	v_fma_f64 v[100:101], v[76:77], s[28:29], v[150:151]
	v_add_f64_e32 v[14:15], v[34:35], v[14:15]
	v_fma_f64 v[134:135], v[76:77], s[36:37], v[142:143]
	v_fma_f64 v[136:137], v[76:77], s[30:31], v[142:143]
	v_add_f64_e32 v[8:9], v[8:9], v[50:51]
	v_add_f64_e32 v[4:5], v[4:5], v[48:49]
	;; [unrolled: 1-line block ×3, first 2 shown]
	v_fma_f64 v[58:59], v[72:73], s[2:3], -v[144:145]
	v_add_f64_e32 v[2:3], v[60:61], v[2:3]
	v_fma_f64 v[92:93], v[76:77], s[10:11], v[146:147]
	v_fma_f64 v[108:109], v[76:77], s[24:25], v[150:151]
	v_add_f64_e32 v[60:61], v[195:196], v[80:81]
	v_add_f64_e32 v[72:73], v[197:198], v[82:83]
	;; [unrolled: 1-line block ×4, first 2 shown]
	v_fma_f64 v[120:121], v[76:77], s[22:23], v[16:17]
	v_add_f64_e32 v[18:19], v[124:125], v[18:19]
	v_add_f64_e32 v[30:31], v[56:57], v[30:31]
	v_add_f64_e32 v[34:35], v[86:87], v[54:55]
	v_fma_f64 v[16:17], v[76:77], s[18:19], v[16:17]
	v_add_f64_e32 v[76:77], v[128:129], v[84:85]
	v_add_f64_e32 v[26:27], v[106:107], v[26:27]
	;; [unrolled: 1-line block ×10, first 2 shown]
	s_mul_u64 s[0:1], s[4:5], 0x3c8
	s_wait_alu 0xfffe
	s_lshl_b64 s[2:3], s[0:1], 4
	v_add_f64_e32 v[64:65], v[104:105], v[14:15]
	v_add_f64_e32 v[8:9], v[8:9], v[46:47]
	;; [unrolled: 1-line block ×5, first 2 shown]
	v_mad_co_u64_u32 v[2:3], null, s4, v188, 0
	v_add_f64_e32 v[52:53], v[32:33], v[60:61]
	v_add_f64_e32 v[54:55], v[38:39], v[72:73]
	;; [unrolled: 1-line block ×20, first 2 shown]
	ds_store_b128 v187, v[52:55] offset:5632
	ds_store_b128 v187, v[60:63] offset:8448
	;; [unrolled: 1-line block ×9, first 2 shown]
	ds_store_b128 v187, v[84:87]
	ds_store_b128 v187, v[44:47] offset:2816
	global_wb scope:SCOPE_SE
	s_wait_dscnt 0x0
	s_barrier_signal -1
	s_barrier_wait -1
	global_inv scope:SCOPE_SE
	ds_load_b128 v[40:43], v187
	ds_load_b128 v[44:47], v187 offset:15488
	scratch_load_b64 v[0:1], off, off offset:16 th:TH_LOAD_LU ; 8-byte Folded Reload
	ds_load_b128 v[48:51], v187 offset:2816
	ds_load_b128 v[52:55], v187 offset:18304
	ds_load_b128 v[56:59], v187 offset:5632
	ds_load_b128 v[60:63], v187 offset:21120
	ds_load_b128 v[64:67], v187 offset:8448
	ds_load_b128 v[68:71], v187 offset:23936
	ds_load_b128 v[72:75], v187 offset:11264
	ds_load_b128 v[76:79], v187 offset:26752
	s_clause 0x2
	scratch_load_b128 v[92:95], off, off offset:40 th:TH_LOAD_LU
	scratch_load_b128 v[88:91], off, off offset:24 th:TH_LOAD_LU
	;; [unrolled: 1-line block ×3, first 2 shown]
	s_wait_loadcnt 0x3
	v_mov_b32_e32 v4, v0
	s_wait_loadcnt_dscnt 0x209
	v_mul_f64_e32 v[7:8], v[94:95], v[40:41]
	s_wait_loadcnt_dscnt 0x108
	v_mul_f64_e32 v[9:10], v[90:91], v[46:47]
	v_mad_co_u64_u32 v[0:1], null, s6, v4, 0
	v_mul_f64_e32 v[11:12], v[90:91], v[44:45]
	s_wait_loadcnt_dscnt 0x5
	v_mul_f64_e32 v[21:22], v[104:105], v[58:59]
	v_mul_f64_e32 v[23:24], v[104:105], v[56:57]
	scratch_load_b128 v[104:107], off, off offset:120 th:TH_LOAD_LU ; 16-byte Folded Reload
	v_mad_co_u64_u32 v[4:5], null, s7, v4, v[1:2]
	v_mul_f64_e32 v[5:6], v[94:95], v[42:43]
	scratch_load_b128 v[94:97], off, off offset:56 th:TH_LOAD_LU ; 16-byte Folded Reload
	s_movk_i32 s6, 0xfce8
	s_mov_b32 s7, -1
	v_mov_b32_e32 v1, v4
	v_mad_co_u64_u32 v[86:87], null, s5, v188, v[3:4]
	s_wait_alu 0xfffe
	s_mul_u64 s[4:5], s[4:5], s[6:7]
	s_mov_b32 s6, 0x6be69c90
	v_lshlrev_b64_e32 v[0:1], 4, v[0:1]
	s_wait_alu 0xfffe
	s_lshl_b64 s[4:5], s[4:5], 4
	s_mov_b32 s7, 0x3f40ecf5
	v_mov_b32_e32 v3, v86
	s_delay_alu instid0(VALU_DEP_2) | instskip(SKIP_2) | instid1(VALU_DEP_3)
	v_add_co_u32 v86, s0, s8, v0
	s_wait_alu 0xf1ff
	v_add_co_ci_u32_e64 v87, s0, s9, v1, s0
	v_lshlrev_b64_e32 v[2:3], 4, v[2:3]
	v_fma_f64 v[0:1], v[92:93], v[40:41], v[5:6]
	v_fma_f64 v[4:5], v[92:93], v[42:43], -v[7:8]
	v_fma_f64 v[6:7], v[88:89], v[44:45], v[9:10]
	v_fma_f64 v[8:9], v[88:89], v[46:47], -v[11:12]
	v_add_co_u32 v42, s0, v86, v2
	s_wait_alu 0xf1ff
	v_add_co_ci_u32_e64 v43, s0, v87, v3, s0
	s_delay_alu instid0(VALU_DEP_2) | instskip(SKIP_1) | instid1(VALU_DEP_2)
	v_add_co_u32 v44, s0, v42, s2
	s_wait_alu 0xf1ff
	v_add_co_ci_u32_e64 v45, s0, s3, v43, s0
	s_wait_alu 0xfffe
	s_delay_alu instid0(VALU_DEP_2) | instskip(SKIP_1) | instid1(VALU_DEP_2)
	v_add_co_u32 v46, s0, v44, s4
	s_wait_alu 0xf1ff
	v_add_co_ci_u32_e64 v47, s0, s5, v45, s0
	v_mul_f64_e32 v[2:3], s[6:7], v[0:1]
	v_mul_f64_e32 v[4:5], s[6:7], v[4:5]
	v_mul_f64_e32 v[6:7], s[6:7], v[6:7]
	v_mul_f64_e32 v[8:9], s[6:7], v[8:9]
	s_wait_loadcnt_dscnt 0x103
	v_mul_f64_e32 v[29:30], v[106:107], v[66:67]
	v_mul_f64_e32 v[31:32], v[106:107], v[64:65]
	scratch_load_b128 v[106:109], off, off offset:136 th:TH_LOAD_LU ; 16-byte Folded Reload
	s_wait_loadcnt 0x1
	v_mul_f64_e32 v[13:14], v[96:97], v[50:51]
	v_mul_f64_e32 v[15:16], v[96:97], v[48:49]
	scratch_load_b128 v[96:99], off, off offset:72 th:TH_LOAD_LU ; 16-byte Folded Reload
	v_fma_f64 v[10:11], v[94:95], v[48:49], v[13:14]
	v_fma_f64 v[12:13], v[94:95], v[50:51], -v[15:16]
	v_add_co_u32 v48, s0, v46, s2
	s_wait_alu 0xf1ff
	v_add_co_ci_u32_e64 v49, s0, s3, v47, s0
	s_delay_alu instid0(VALU_DEP_2) | instskip(SKIP_1) | instid1(VALU_DEP_2)
	v_add_co_u32 v50, s0, v48, s4
	s_wait_alu 0xf1ff
	v_add_co_ci_u32_e64 v51, s0, s5, v49, s0
	v_mul_f64_e32 v[10:11], s[6:7], v[10:11]
	v_mul_f64_e32 v[12:13], s[6:7], v[12:13]
	s_wait_loadcnt_dscnt 0x102
	v_mul_f64_e32 v[33:34], v[108:109], v[70:71]
	v_mul_f64_e32 v[35:36], v[108:109], v[68:69]
	scratch_load_b128 v[108:111], off, off offset:160 th:TH_LOAD_LU ; 16-byte Folded Reload
	s_wait_loadcnt 0x1
	v_mul_f64_e32 v[17:18], v[98:99], v[54:55]
	v_mul_f64_e32 v[19:20], v[98:99], v[52:53]
	scratch_load_b128 v[98:101], off, off offset:88 th:TH_LOAD_LU ; 16-byte Folded Reload
	v_fma_f64 v[14:15], v[96:97], v[52:53], v[17:18]
	v_fma_f64 v[16:17], v[96:97], v[54:55], -v[19:20]
	v_fma_f64 v[18:19], v[102:103], v[56:57], v[21:22]
	v_fma_f64 v[20:21], v[102:103], v[58:59], -v[23:24]
	v_add_co_u32 v52, s0, v50, s2
	s_wait_alu 0xf1ff
	v_add_co_ci_u32_e64 v53, s0, s3, v51, s0
	s_delay_alu instid0(VALU_DEP_2) | instskip(SKIP_1) | instid1(VALU_DEP_2)
	v_add_co_u32 v54, s0, v52, s4
	s_wait_alu 0xf1ff
	v_add_co_ci_u32_e64 v55, s0, s5, v53, s0
	s_delay_alu instid0(VALU_DEP_2) | instskip(SKIP_1) | instid1(VALU_DEP_2)
	;; [unrolled: 4-line block ×4, first 2 shown]
	v_add_co_u32 v0, s0, v58, s2
	s_wait_alu 0xf1ff
	v_add_co_ci_u32_e64 v1, s0, s3, v59, s0
	v_mul_f64_e32 v[14:15], s[6:7], v[14:15]
	v_mul_f64_e32 v[16:17], s[6:7], v[16:17]
	;; [unrolled: 1-line block ×4, first 2 shown]
	s_wait_loadcnt_dscnt 0x101
	v_mul_f64_e32 v[37:38], v[110:111], v[74:75]
	v_mul_f64_e32 v[80:81], v[110:111], v[72:73]
	scratch_load_b128 v[110:113], off, off offset:176 th:TH_LOAD_LU ; 16-byte Folded Reload
	s_wait_loadcnt 0x1
	v_mul_f64_e32 v[25:26], v[100:101], v[62:63]
	v_mul_f64_e32 v[27:28], v[100:101], v[60:61]
	s_delay_alu instid0(VALU_DEP_2) | instskip(NEXT) | instid1(VALU_DEP_2)
	v_fma_f64 v[22:23], v[98:99], v[60:61], v[25:26]
	v_fma_f64 v[24:25], v[98:99], v[62:63], -v[27:28]
	v_fma_f64 v[26:27], v[104:105], v[64:65], v[29:30]
	v_fma_f64 v[28:29], v[104:105], v[66:67], -v[31:32]
	;; [unrolled: 2-line block ×4, first 2 shown]
	v_mul_f64_e32 v[22:23], s[6:7], v[22:23]
	v_mul_f64_e32 v[24:25], s[6:7], v[24:25]
	;; [unrolled: 1-line block ×8, first 2 shown]
	s_wait_loadcnt_dscnt 0x0
	v_mul_f64_e32 v[82:83], v[112:113], v[78:79]
	v_mul_f64_e32 v[84:85], v[112:113], v[76:77]
	s_delay_alu instid0(VALU_DEP_2) | instskip(NEXT) | instid1(VALU_DEP_2)
	v_fma_f64 v[38:39], v[110:111], v[76:77], v[82:83]
	v_fma_f64 v[40:41], v[110:111], v[78:79], -v[84:85]
	s_delay_alu instid0(VALU_DEP_2) | instskip(NEXT) | instid1(VALU_DEP_2)
	v_mul_f64_e32 v[38:39], s[6:7], v[38:39]
	v_mul_f64_e32 v[40:41], s[6:7], v[40:41]
	s_clause 0x4
	global_store_b128 v[42:43], v[2:5], off
	global_store_b128 v[44:45], v[6:9], off
	;; [unrolled: 1-line block ×10, first 2 shown]
	s_and_b32 exec_lo, exec_lo, vcc_lo
	s_cbranch_execz .LBB0_31
; %bb.30:
	s_clause 0x1
	global_load_b128 v[2:5], v[201:202], off offset:14080
	global_load_b128 v[6:9], v[201:202], off offset:29568
	ds_load_b128 v[10:13], v187 offset:14080
	ds_load_b128 v[14:17], v187 offset:29568
	v_add_co_u32 v0, vcc_lo, v0, s4
	s_wait_alu 0xfffd
	v_add_co_ci_u32_e32 v1, vcc_lo, s5, v1, vcc_lo
	s_wait_loadcnt_dscnt 0x101
	v_mul_f64_e32 v[18:19], v[12:13], v[4:5]
	v_mul_f64_e32 v[4:5], v[10:11], v[4:5]
	s_wait_loadcnt_dscnt 0x0
	v_mul_f64_e32 v[20:21], v[16:17], v[8:9]
	v_mul_f64_e32 v[8:9], v[14:15], v[8:9]
	s_delay_alu instid0(VALU_DEP_4) | instskip(NEXT) | instid1(VALU_DEP_4)
	v_fma_f64 v[10:11], v[10:11], v[2:3], v[18:19]
	v_fma_f64 v[4:5], v[2:3], v[12:13], -v[4:5]
	s_delay_alu instid0(VALU_DEP_4) | instskip(NEXT) | instid1(VALU_DEP_4)
	v_fma_f64 v[12:13], v[14:15], v[6:7], v[20:21]
	v_fma_f64 v[8:9], v[6:7], v[16:17], -v[8:9]
	s_delay_alu instid0(VALU_DEP_4) | instskip(NEXT) | instid1(VALU_DEP_4)
	v_mul_f64_e32 v[2:3], s[6:7], v[10:11]
	v_mul_f64_e32 v[4:5], s[6:7], v[4:5]
	s_delay_alu instid0(VALU_DEP_4) | instskip(NEXT) | instid1(VALU_DEP_4)
	v_mul_f64_e32 v[6:7], s[6:7], v[12:13]
	v_mul_f64_e32 v[8:9], s[6:7], v[8:9]
	v_add_co_u32 v10, vcc_lo, v0, s2
	s_wait_alu 0xfffd
	v_add_co_ci_u32_e32 v11, vcc_lo, s3, v1, vcc_lo
	global_store_b128 v[0:1], v[2:5], off
	global_store_b128 v[10:11], v[6:9], off
.LBB0_31:
	s_nop 0
	s_sendmsg sendmsg(MSG_DEALLOC_VGPRS)
	s_endpgm
	.section	.rodata,"a",@progbits
	.p2align	6, 0x0
	.amdhsa_kernel bluestein_single_back_len1936_dim1_dp_op_CI_CI
		.amdhsa_group_segment_fixed_size 30976
		.amdhsa_private_segment_fixed_size 352
		.amdhsa_kernarg_size 104
		.amdhsa_user_sgpr_count 2
		.amdhsa_user_sgpr_dispatch_ptr 0
		.amdhsa_user_sgpr_queue_ptr 0
		.amdhsa_user_sgpr_kernarg_segment_ptr 1
		.amdhsa_user_sgpr_dispatch_id 0
		.amdhsa_user_sgpr_private_segment_size 0
		.amdhsa_wavefront_size32 1
		.amdhsa_uses_dynamic_stack 0
		.amdhsa_enable_private_segment 1
		.amdhsa_system_sgpr_workgroup_id_x 1
		.amdhsa_system_sgpr_workgroup_id_y 0
		.amdhsa_system_sgpr_workgroup_id_z 0
		.amdhsa_system_sgpr_workgroup_info 0
		.amdhsa_system_vgpr_workitem_id 0
		.amdhsa_next_free_vgpr 256
		.amdhsa_next_free_sgpr 42
		.amdhsa_reserve_vcc 1
		.amdhsa_float_round_mode_32 0
		.amdhsa_float_round_mode_16_64 0
		.amdhsa_float_denorm_mode_32 3
		.amdhsa_float_denorm_mode_16_64 3
		.amdhsa_fp16_overflow 0
		.amdhsa_workgroup_processor_mode 1
		.amdhsa_memory_ordered 1
		.amdhsa_forward_progress 0
		.amdhsa_round_robin_scheduling 0
		.amdhsa_exception_fp_ieee_invalid_op 0
		.amdhsa_exception_fp_denorm_src 0
		.amdhsa_exception_fp_ieee_div_zero 0
		.amdhsa_exception_fp_ieee_overflow 0
		.amdhsa_exception_fp_ieee_underflow 0
		.amdhsa_exception_fp_ieee_inexact 0
		.amdhsa_exception_int_div_zero 0
	.end_amdhsa_kernel
	.text
.Lfunc_end0:
	.size	bluestein_single_back_len1936_dim1_dp_op_CI_CI, .Lfunc_end0-bluestein_single_back_len1936_dim1_dp_op_CI_CI
                                        ; -- End function
	.section	.AMDGPU.csdata,"",@progbits
; Kernel info:
; codeLenInByte = 18508
; NumSgprs: 44
; NumVgprs: 256
; ScratchSize: 352
; MemoryBound: 0
; FloatMode: 240
; IeeeMode: 1
; LDSByteSize: 30976 bytes/workgroup (compile time only)
; SGPRBlocks: 5
; VGPRBlocks: 31
; NumSGPRsForWavesPerEU: 44
; NumVGPRsForWavesPerEU: 256
; Occupancy: 5
; WaveLimiterHint : 1
; COMPUTE_PGM_RSRC2:SCRATCH_EN: 1
; COMPUTE_PGM_RSRC2:USER_SGPR: 2
; COMPUTE_PGM_RSRC2:TRAP_HANDLER: 0
; COMPUTE_PGM_RSRC2:TGID_X_EN: 1
; COMPUTE_PGM_RSRC2:TGID_Y_EN: 0
; COMPUTE_PGM_RSRC2:TGID_Z_EN: 0
; COMPUTE_PGM_RSRC2:TIDIG_COMP_CNT: 0
	.text
	.p2alignl 7, 3214868480
	.fill 96, 4, 3214868480
	.type	__hip_cuid_bdf3c139c7b0fdf9,@object ; @__hip_cuid_bdf3c139c7b0fdf9
	.section	.bss,"aw",@nobits
	.globl	__hip_cuid_bdf3c139c7b0fdf9
__hip_cuid_bdf3c139c7b0fdf9:
	.byte	0                               ; 0x0
	.size	__hip_cuid_bdf3c139c7b0fdf9, 1

	.ident	"AMD clang version 19.0.0git (https://github.com/RadeonOpenCompute/llvm-project roc-6.4.0 25133 c7fe45cf4b819c5991fe208aaa96edf142730f1d)"
	.section	".note.GNU-stack","",@progbits
	.addrsig
	.addrsig_sym __hip_cuid_bdf3c139c7b0fdf9
	.amdgpu_metadata
---
amdhsa.kernels:
  - .args:
      - .actual_access:  read_only
        .address_space:  global
        .offset:         0
        .size:           8
        .value_kind:     global_buffer
      - .actual_access:  read_only
        .address_space:  global
        .offset:         8
        .size:           8
        .value_kind:     global_buffer
      - .actual_access:  read_only
        .address_space:  global
        .offset:         16
        .size:           8
        .value_kind:     global_buffer
      - .actual_access:  read_only
        .address_space:  global
        .offset:         24
        .size:           8
        .value_kind:     global_buffer
      - .actual_access:  read_only
        .address_space:  global
        .offset:         32
        .size:           8
        .value_kind:     global_buffer
      - .offset:         40
        .size:           8
        .value_kind:     by_value
      - .address_space:  global
        .offset:         48
        .size:           8
        .value_kind:     global_buffer
      - .address_space:  global
        .offset:         56
        .size:           8
        .value_kind:     global_buffer
      - .address_space:  global
        .offset:         64
        .size:           8
        .value_kind:     global_buffer
      - .address_space:  global
        .offset:         72
        .size:           8
        .value_kind:     global_buffer
      - .offset:         80
        .size:           4
        .value_kind:     by_value
      - .address_space:  global
        .offset:         88
        .size:           8
        .value_kind:     global_buffer
      - .address_space:  global
        .offset:         96
        .size:           8
        .value_kind:     global_buffer
    .group_segment_fixed_size: 30976
    .kernarg_segment_align: 8
    .kernarg_segment_size: 104
    .language:       OpenCL C
    .language_version:
      - 2
      - 0
    .max_flat_workgroup_size: 176
    .name:           bluestein_single_back_len1936_dim1_dp_op_CI_CI
    .private_segment_fixed_size: 352
    .sgpr_count:     44
    .sgpr_spill_count: 0
    .symbol:         bluestein_single_back_len1936_dim1_dp_op_CI_CI.kd
    .uniform_work_group_size: 1
    .uses_dynamic_stack: false
    .vgpr_count:     256
    .vgpr_spill_count: 91
    .wavefront_size: 32
    .workgroup_processor_mode: 1
amdhsa.target:   amdgcn-amd-amdhsa--gfx1201
amdhsa.version:
  - 1
  - 2
...

	.end_amdgpu_metadata
